;; amdgpu-corpus repo=ROCm/rocFFT kind=compiled arch=gfx1201 opt=O3
	.text
	.amdgcn_target "amdgcn-amd-amdhsa--gfx1201"
	.amdhsa_code_object_version 6
	.protected	bluestein_single_fwd_len1650_dim1_sp_op_CI_CI ; -- Begin function bluestein_single_fwd_len1650_dim1_sp_op_CI_CI
	.globl	bluestein_single_fwd_len1650_dim1_sp_op_CI_CI
	.p2align	8
	.type	bluestein_single_fwd_len1650_dim1_sp_op_CI_CI,@function
bluestein_single_fwd_len1650_dim1_sp_op_CI_CI: ; @bluestein_single_fwd_len1650_dim1_sp_op_CI_CI
; %bb.0:
	s_load_b128 s[12:15], s[0:1], 0x28
	v_mul_u32_u24_e32 v1, 0x254, v0
	s_mov_b32 s2, exec_lo
	v_mov_b32_e32 v111, 0
	s_delay_alu instid0(VALU_DEP_2) | instskip(NEXT) | instid1(VALU_DEP_1)
	v_lshrrev_b32_e32 v1, 16, v1
	v_add_nc_u32_e32 v110, ttmp9, v1
	s_wait_kmcnt 0x0
	s_delay_alu instid0(VALU_DEP_1)
	v_cmpx_gt_u64_e64 s[12:13], v[110:111]
	s_cbranch_execz .LBB0_23
; %bb.1:
	s_clause 0x1
	s_load_b128 s[4:7], s[0:1], 0x18
	s_load_b64 s[12:13], s[0:1], 0x0
	v_mul_lo_u16 v1, 0x6e, v1
	s_delay_alu instid0(VALU_DEP_1) | instskip(NEXT) | instid1(VALU_DEP_1)
	v_sub_nc_u16 v33, v0, v1
	v_and_b32_e32 v154, 0xffff, v33
	s_wait_kmcnt 0x0
	s_load_b128 s[8:11], s[4:5], 0x0
	s_wait_kmcnt 0x0
	v_mad_co_u64_u32 v[0:1], null, s10, v110, 0
	v_mad_co_u64_u32 v[2:3], null, s8, v154, 0
	s_mul_u64 s[2:3], s[8:9], 0x96
	s_delay_alu instid0(VALU_DEP_1) | instskip(NEXT) | instid1(VALU_DEP_1)
	v_mad_co_u64_u32 v[4:5], null, s11, v110, v[1:2]
	v_mov_b32_e32 v1, v4
	s_delay_alu instid0(VALU_DEP_3)
	v_mad_co_u64_u32 v[5:6], null, s9, v154, v[3:4]
	v_lshlrev_b32_e32 v153, 3, v154
	s_clause 0x3
	global_load_b64 v[131:132], v153, s[12:13]
	global_load_b64 v[129:130], v153, s[12:13] offset:1200
	global_load_b64 v[123:124], v153, s[12:13] offset:2400
	;; [unrolled: 1-line block ×3, first 2 shown]
	v_mov_b32_e32 v3, v5
	v_lshlrev_b64_e32 v[0:1], 3, v[0:1]
	s_clause 0x4
	global_load_b64 v[119:120], v153, s[12:13] offset:4800
	global_load_b64 v[121:122], v153, s[12:13] offset:6000
	;; [unrolled: 1-line block ×5, first 2 shown]
	v_lshlrev_b64_e32 v[2:3], 3, v[2:3]
	v_add_co_u32 v0, vcc_lo, s14, v0
	v_add_co_ci_u32_e32 v1, vcc_lo, s15, v1, vcc_lo
	s_lshl_b64 s[14:15], s[2:3], 3
	s_delay_alu instid0(VALU_DEP_2) | instskip(SKIP_1) | instid1(VALU_DEP_2)
	v_add_co_u32 v0, vcc_lo, v0, v2
	s_wait_alu 0xfffd
	v_add_co_ci_u32_e32 v1, vcc_lo, v1, v3, vcc_lo
	s_wait_alu 0xfffe
	s_delay_alu instid0(VALU_DEP_2) | instskip(SKIP_1) | instid1(VALU_DEP_2)
	v_add_co_u32 v2, vcc_lo, v0, s14
	s_wait_alu 0xfffd
	v_add_co_ci_u32_e32 v3, vcc_lo, s15, v1, vcc_lo
	s_clause 0x1
	global_load_b64 v[8:9], v[0:1], off
	global_load_b64 v[10:11], v[2:3], off
	v_add_co_u32 v4, vcc_lo, v2, s14
	s_wait_alu 0xfffd
	v_add_co_ci_u32_e32 v5, vcc_lo, s15, v3, vcc_lo
	s_delay_alu instid0(VALU_DEP_2) | instskip(SKIP_1) | instid1(VALU_DEP_2)
	v_add_co_u32 v6, vcc_lo, v4, s14
	s_wait_alu 0xfffd
	v_add_co_ci_u32_e32 v7, vcc_lo, s15, v5, vcc_lo
	s_delay_alu instid0(VALU_DEP_2) | instskip(SKIP_1) | instid1(VALU_DEP_2)
	v_add_co_u32 v0, vcc_lo, v6, s14
	s_wait_alu 0xfffd
	v_add_co_ci_u32_e32 v1, vcc_lo, s15, v7, vcc_lo
	s_clause 0x1
	global_load_b64 v[13:14], v[4:5], off
	global_load_b64 v[5:6], v[6:7], off
	v_add_co_u32 v2, vcc_lo, v0, s14
	s_wait_alu 0xfffd
	v_add_co_ci_u32_e32 v3, vcc_lo, s15, v1, vcc_lo
	global_load_b64 v[15:16], v[0:1], off
	v_add_co_u32 v0, vcc_lo, v2, s14
	s_wait_alu 0xfffd
	v_add_co_ci_u32_e32 v1, vcc_lo, s15, v3, vcc_lo
	;; [unrolled: 4-line block ×6, first 2 shown]
	v_cmp_gt_u16_e32 vcc_lo, 40, v33
	s_wait_loadcnt 0x8
	v_mul_f32_e32 v30, v8, v132
	global_load_b64 v[25:26], v[2:3], off
	s_clause 0x1
	global_load_b64 v[125:126], v153, s[12:13] offset:10800
	global_load_b64 v[127:128], v153, s[12:13] offset:12000
	global_load_b64 v[27:28], v[0:1], off
	v_dual_mul_f32 v7, v9, v132 :: v_dual_add_nc_u32 v2, 0x1000, v153
	v_add_nc_u32_e32 v4, 0x1c00, v153
	v_add_nc_u32_e32 v3, 0x800, v153
	s_wait_loadcnt 0xb
	v_dual_mul_f32 v29, v11, v130 :: v_dual_add_nc_u32 v12, 0x2400, v153
	v_fmac_f32_e32 v7, v8, v131
	v_fma_f32 v8, v9, v131, -v30
	v_mul_f32_e32 v30, v10, v130
	s_delay_alu instid0(VALU_DEP_4)
	v_fmac_f32_e32 v29, v10, v129
	s_load_b64 s[10:11], s[0:1], 0x38
	s_load_b128 s[4:7], s[6:7], 0x0
	v_add_co_u32 v108, s2, s12, v153
	s_wait_loadcnt 0xa
	v_mul_f32_e32 v9, v14, v124
	s_wait_loadcnt 0x9
	v_dual_mul_f32 v10, v13, v124 :: v_dual_mul_f32 v31, v6, v114
	v_mul_f32_e32 v32, v5, v114
	v_fma_f32 v30, v11, v129, -v30
	v_add_co_ci_u32_e64 v109, null, s13, 0, s2
	s_delay_alu instid0(VALU_DEP_4) | instskip(NEXT) | instid1(VALU_DEP_4)
	v_fma_f32 v10, v14, v123, -v10
	v_fma_f32 v32, v6, v113, -v32
	s_wait_loadcnt 0x8
	v_dual_mul_f32 v6, v15, v120 :: v_dual_fmac_f32 v31, v5, v113
	ds_store_2addr_b64 v153, v[7:8], v[29:30] offset1:150
	s_wait_loadcnt 0x7
	v_mul_f32_e32 v8, v17, v122
	v_fmac_f32_e32 v9, v13, v123
	v_mul_f32_e32 v5, v16, v120
	v_mul_f32_e32 v7, v18, v122
	v_fma_f32 v6, v16, v119, -v6
	v_fma_f32 v8, v18, v121, -v8
	ds_store_2addr_b64 v3, v[9:10], v[31:32] offset0:44 offset1:194
	s_wait_loadcnt 0x6
	v_mul_f32_e32 v9, v20, v112
	v_mul_f32_e32 v10, v19, v112
	s_wait_loadcnt 0x5
	v_mul_f32_e32 v11, v21, v116
	v_mul_f32_e32 v13, v22, v116
	v_fmac_f32_e32 v7, v17, v121
	v_fmac_f32_e32 v9, v19, v111
	v_fma_f32 v10, v20, v111, -v10
	v_fma_f32 v14, v22, v115, -v11
	s_wait_loadcnt 0x4
	v_mul_f32_e32 v11, v23, v118
	v_fmac_f32_e32 v13, v21, v115
	s_delay_alu instid0(VALU_DEP_2)
	v_fma_f32 v16, v24, v117, -v11
	s_wait_loadcnt 0x2
	v_dual_mul_f32 v18, v25, v126 :: v_dual_fmac_f32 v5, v15, v119
	v_mul_f32_e32 v15, v24, v118
	v_mul_f32_e32 v17, v26, v126
	s_wait_loadcnt 0x0
	v_mul_f32_e32 v19, v28, v128
	v_mul_f32_e32 v20, v27, v128
	v_fma_f32 v18, v26, v125, -v18
	v_fmac_f32_e32 v15, v23, v117
	v_fmac_f32_e32 v17, v25, v125
	;; [unrolled: 1-line block ×3, first 2 shown]
	v_fma_f32 v20, v28, v127, -v20
	ds_store_2addr_b64 v2, v[5:6], v[7:8] offset0:88 offset1:238
	ds_store_2addr_b64 v4, v[9:10], v[13:14] offset0:4 offset1:154
	;; [unrolled: 1-line block ×3, first 2 shown]
	ds_store_b64 v153, v[19:20] offset:12000
	s_and_saveexec_b32 s3, vcc_lo
	s_cbranch_execz .LBB0_3
; %bb.2:
	v_mad_co_u64_u32 v[0:1], null, 0xffffd490, s8, v[0:1]
	s_mul_i32 s2, s9, 0xffffd490
	s_clause 0x3
	global_load_b64 v[5:6], v[108:109], off offset:880
	global_load_b64 v[7:8], v[108:109], off offset:2080
	;; [unrolled: 1-line block ×4, first 2 shown]
	s_wait_alu 0xfffe
	s_sub_co_i32 s2, s2, s8
	s_clause 0x1
	global_load_b64 v[17:18], v[108:109], off offset:5680
	global_load_b64 v[19:20], v[108:109], off offset:6880
	v_add_nc_u32_e32 v54, 0x2800, v153
	s_wait_alu 0xfffe
	v_add_nc_u32_e32 v1, s2, v1
	v_add_co_u32 v15, s2, v0, s14
	s_wait_alu 0xf1ff
	s_delay_alu instid0(VALU_DEP_2) | instskip(NEXT) | instid1(VALU_DEP_2)
	v_add_co_ci_u32_e64 v16, s2, s15, v1, s2
	v_add_co_u32 v21, s2, v15, s14
	global_load_b64 v[0:1], v[0:1], off
	s_wait_alu 0xf1ff
	v_add_co_ci_u32_e64 v22, s2, s15, v16, s2
	v_add_co_u32 v23, s2, v21, s14
	global_load_b64 v[15:16], v[15:16], off
	s_wait_alu 0xf1ff
	;; [unrolled: 4-line block ×6, first 2 shown]
	v_add_co_ci_u32_e64 v32, s2, s15, v30, s2
	v_add_co_u32 v33, s2, v31, s14
	v_add_nc_u32_e32 v11, 0x200, v153
	s_wait_alu 0xf1ff
	s_delay_alu instid0(VALU_DEP_3)
	v_add_co_ci_u32_e64 v34, s2, s15, v32, s2
	s_clause 0x1
	global_load_b64 v[35:36], v[108:109], off offset:8080
	global_load_b64 v[37:38], v[108:109], off offset:9280
	global_load_b64 v[29:30], v[29:30], off
	global_load_b64 v[31:32], v[31:32], off
	global_load_b64 v[39:40], v[33:34], off
	v_add_co_u32 v33, s2, v33, s14
	s_wait_alu 0xf1ff
	v_add_co_ci_u32_e64 v34, s2, s15, v34, s2
	global_load_b64 v[41:42], v[108:109], off offset:10480
	v_add_co_u32 v43, s2, v33, s14
	s_wait_alu 0xf1ff
	v_add_co_ci_u32_e64 v44, s2, s15, v34, s2
	global_load_b64 v[33:34], v[33:34], off
	s_clause 0x1
	global_load_b64 v[45:46], v[108:109], off offset:11680
	global_load_b64 v[47:48], v[108:109], off offset:12880
	global_load_b64 v[43:44], v[43:44], off
	v_add_nc_u32_e32 v51, 0xc00, v153
	s_wait_loadcnt 0xf
	v_dual_mul_f32 v49, v1, v6 :: v_dual_add_nc_u32 v52, 0x1400, v153
	v_mul_f32_e32 v50, v0, v6
	s_wait_loadcnt 0xe
	v_mul_f32_e32 v6, v16, v8
	v_dual_mul_f32 v8, v15, v8 :: v_dual_add_nc_u32 v53, 0x1e00, v153
	v_fmac_f32_e32 v49, v0, v5
	v_fma_f32 v50, v1, v5, -v50
	s_wait_loadcnt 0xd
	v_mul_f32_e32 v0, v22, v10
	v_fmac_f32_e32 v6, v15, v7
	v_fma_f32 v7, v16, v7, -v8
	v_mul_f32_e32 v1, v21, v10
	s_wait_loadcnt 0xc
	v_dual_mul_f32 v5, v24, v14 :: v_dual_fmac_f32 v0, v21, v9
	ds_store_2addr_b64 v11, v[49:50], v[6:7] offset0:46 offset1:196
	v_mul_f32_e32 v6, v23, v14
	v_fma_f32 v1, v22, v9, -v1
	s_wait_loadcnt 0xb
	v_mul_f32_e32 v7, v26, v18
	v_dual_fmac_f32 v5, v23, v13 :: v_dual_mul_f32 v8, v25, v18
	s_wait_loadcnt 0xa
	v_mul_f32_e32 v9, v28, v20
	v_mul_f32_e32 v10, v27, v20
	v_fma_f32 v6, v24, v13, -v6
	v_fmac_f32_e32 v7, v25, v17
	v_fma_f32 v8, v26, v17, -v8
	v_fmac_f32_e32 v9, v27, v19
	s_wait_loadcnt 0x7
	v_mul_f32_e32 v11, v29, v36
	v_mul_f32_e32 v13, v30, v36
	s_wait_loadcnt 0x6
	v_mul_f32_e32 v15, v32, v38
	v_mul_f32_e32 v16, v31, v38
	v_fma_f32 v10, v28, v19, -v10
	v_fma_f32 v14, v30, v35, -v11
	v_fmac_f32_e32 v13, v29, v35
	s_wait_loadcnt 0x4
	v_mul_f32_e32 v17, v40, v42
	v_mul_f32_e32 v11, v39, v42
	v_fma_f32 v16, v32, v37, -v16
	s_wait_loadcnt 0x2
	v_mul_f32_e32 v19, v34, v46
	v_mul_f32_e32 v20, v33, v46
	s_wait_loadcnt 0x0
	v_mul_f32_e32 v22, v43, v48
	v_mul_f32_e32 v21, v44, v48
	v_fmac_f32_e32 v15, v31, v37
	v_fmac_f32_e32 v17, v39, v41
	v_fma_f32 v18, v40, v41, -v11
	v_fmac_f32_e32 v19, v33, v45
	v_fma_f32 v20, v34, v45, -v20
	;; [unrolled: 2-line block ×3, first 2 shown]
	ds_store_2addr_b64 v51, v[0:1], v[5:6] offset0:26 offset1:176
	ds_store_2addr_b64 v52, v[7:8], v[9:10] offset0:70 offset1:220
	;; [unrolled: 1-line block ×4, first 2 shown]
	ds_store_b64 v153, v[21:22] offset:12880
.LBB0_3:
	s_wait_alu 0xfffe
	s_or_b32 exec_lo, exec_lo, s3
	global_wb scope:SCOPE_SE
	s_wait_dscnt 0x0
	s_wait_kmcnt 0x0
	s_barrier_signal -1
	s_barrier_wait -1
	global_inv scope:SCOPE_SE
	ds_load_2addr_b64 v[36:39], v153 offset1:150
	ds_load_2addr_b64 v[8:11], v3 offset0:44 offset1:194
	ds_load_2addr_b64 v[0:3], v2 offset0:88 offset1:238
	;; [unrolled: 1-line block ×4, first 2 shown]
	ds_load_b64 v[42:43], v153 offset:12000
	v_mov_b32_e32 v20, 0
	v_mov_b32_e32 v21, 0
                                        ; implicit-def: $vgpr16
                                        ; implicit-def: $vgpr12
                                        ; implicit-def: $vgpr40
                                        ; implicit-def: $vgpr26
                                        ; implicit-def: $vgpr30
	s_and_saveexec_b32 s2, vcc_lo
	s_cbranch_execz .LBB0_5
; %bb.4:
	v_add_nc_u32_e32 v12, 0x200, v153
	v_add_nc_u32_e32 v13, 0xc00, v153
	;; [unrolled: 1-line block ×5, first 2 shown]
	ds_load_2addr_b64 v[20:23], v12 offset0:46 offset1:196
	ds_load_2addr_b64 v[28:31], v13 offset0:26 offset1:176
	;; [unrolled: 1-line block ×5, first 2 shown]
	ds_load_b64 v[40:41], v153 offset:12880
.LBB0_5:
	s_wait_alu 0xfffe
	s_or_b32 exec_lo, exec_lo, s2
	s_wait_dscnt 0x5
	v_dual_add_f32 v44, v36, v38 :: v_dual_add_f32 v45, v37, v39
	s_load_b64 s[2:3], s[0:1], 0x8
	v_add_co_u32 v58, s0, 0x6e, v154
	s_wait_dscnt 0x4
	s_delay_alu instid0(VALU_DEP_2)
	v_dual_add_f32 v44, v44, v8 :: v_dual_add_f32 v45, v45, v9
	s_wait_alu 0xf1ff
	v_add_co_ci_u32_e64 v46, null, 0, 0, s0
	s_wait_dscnt 0x0
	v_dual_add_f32 v46, v42, v38 :: v_dual_sub_f32 v47, v39, v43
	v_dual_add_f32 v44, v44, v10 :: v_dual_add_f32 v45, v45, v11
	v_sub_f32_e32 v48, v38, v42
	v_sub_f32_e32 v68, v25, v19
	;; [unrolled: 1-line block ×3, first 2 shown]
	s_delay_alu instid0(VALU_DEP_4) | instskip(SKIP_2) | instid1(VALU_DEP_3)
	v_add_f32_e32 v38, v44, v0
	v_dual_add_f32 v44, v45, v1 :: v_dual_add_f32 v45, v43, v39
	v_mul_f32_e32 v49, 0xbf0a6770, v48
	v_dual_mul_f32 v39, 0xbf0a6770, v47 :: v_dual_add_f32 v38, v38, v2
	s_delay_alu instid0(VALU_DEP_3) | instskip(SKIP_1) | instid1(VALU_DEP_3)
	v_dual_mul_f32 v51, 0xbf68dda4, v48 :: v_dual_add_f32 v44, v44, v3
	v_mul_u32_u24_e32 v155, 11, v58
	v_fma_f32 v53, 0x3f575c64, v46, -v39
	v_fmac_f32_e32 v39, 0x3f575c64, v46
	s_delay_alu instid0(VALU_DEP_4) | instskip(SKIP_1) | instid1(VALU_DEP_4)
	v_fmamk_f32 v56, v45, 0x3ed4b147, v51
	v_add_f32_e32 v44, v44, v5
	v_dual_mul_f32 v50, 0xbf68dda4, v47 :: v_dual_add_f32 v53, v36, v53
	s_delay_alu instid0(VALU_DEP_4) | instskip(NEXT) | instid1(VALU_DEP_3)
	v_dual_add_f32 v38, v38, v4 :: v_dual_add_f32 v57, v36, v39
	v_add_f32_e32 v44, v44, v7
	s_delay_alu instid0(VALU_DEP_3) | instskip(SKIP_4) | instid1(VALU_DEP_4)
	v_fma_f32 v55, 0x3ed4b147, v46, -v50
	v_fmamk_f32 v54, v45, 0x3f575c64, v49
	v_mul_f32_e32 v61, 0xbf4178ce, v48
	v_fma_f32 v49, 0x3f575c64, v45, -v49
	v_add_f32_e32 v44, v44, v33
	v_dual_add_f32 v55, v36, v55 :: v_dual_add_f32 v54, v37, v54
	s_delay_alu instid0(VALU_DEP_4) | instskip(SKIP_1) | instid1(VALU_DEP_4)
	v_fmamk_f32 v62, v45, 0xbf27a4f4, v61
	v_fma_f32 v61, 0xbf27a4f4, v45, -v61
	v_add_f32_e32 v44, v44, v35
	v_dual_mul_f32 v52, 0xbf7d64f0, v47 :: v_dual_add_f32 v49, v37, v49
	global_wb scope:SCOPE_SE
	v_dual_add_f32 v61, v37, v61 :: v_dual_add_f32 v38, v38, v6
	v_add_f32_e32 v39, v44, v43
	v_add_f32_e32 v43, v37, v56
	v_fma_f32 v44, 0xbe11bafb, v46, -v52
	v_fmac_f32_e32 v52, 0xbe11bafb, v46
	v_add_f32_e32 v38, v38, v32
	s_wait_kmcnt 0x0
	s_barrier_signal -1
	s_barrier_wait -1
	global_inv scope:SCOPE_SE
	v_dual_sub_f32 v65, v9, v35 :: v_dual_add_f32 v38, v38, v34
	v_dual_add_f32 v52, v36, v52 :: v_dual_add_f32 v9, v35, v9
	v_sub_f32_e32 v69, v24, v18
	s_delay_alu instid0(VALU_DEP_3) | instskip(SKIP_3) | instid1(VALU_DEP_2)
	v_dual_mul_f32 v89, 0xbf0a6770, v68 :: v_dual_add_f32 v38, v38, v42
	v_fma_f32 v42, 0x3ed4b147, v45, -v51
	v_mul_f32_e32 v51, 0xbf7d64f0, v48
	v_dual_mul_f32 v48, 0xbe903f40, v48 :: v_dual_sub_f32 v95, v27, v17
	v_fmamk_f32 v59, v45, 0xbe11bafb, v51
	v_fmac_f32_e32 v50, 0x3ed4b147, v46
	v_fma_f32 v51, 0xbe11bafb, v45, -v51
	s_delay_alu instid0(VALU_DEP_2)
	v_dual_add_f32 v59, v37, v59 :: v_dual_add_f32 v50, v36, v50
	v_add_f32_e32 v66, v34, v8
	v_fmamk_f32 v64, v45, 0xbf75a155, v48
	v_fma_f32 v45, 0xbf75a155, v45, -v48
	v_mul_f32_e32 v56, 0xbf4178ce, v47
	v_dual_add_f32 v51, v37, v51 :: v_dual_sub_f32 v8, v8, v34
	v_add_f32_e32 v42, v37, v42
	v_add_f32_e32 v62, v37, v62
	;; [unrolled: 1-line block ×4, first 2 shown]
	v_mul_f32_e32 v45, 0xbf4178ce, v65
	v_mul_f32_e32 v47, 0xbe903f40, v47
	;; [unrolled: 1-line block ×3, first 2 shown]
	v_add_f32_e32 v44, v36, v44
	v_fma_f32 v60, 0xbf27a4f4, v46, -v56
	v_fma_f32 v48, 0xbf27a4f4, v66, -v45
	v_fmac_f32_e32 v45, 0xbf27a4f4, v66
	v_fmac_f32_e32 v56, 0xbf27a4f4, v46
	v_fma_f32 v63, 0xbf75a155, v46, -v47
	v_fmac_f32_e32 v47, 0xbf75a155, v46
	v_mul_f32_e32 v35, 0xbf68dda4, v8
	v_add_f32_e32 v45, v45, v50
	v_fma_f32 v46, 0x3ed4b147, v66, -v34
	v_add_f32_e32 v60, v36, v60
	v_add_f32_e32 v56, v36, v56
	v_add_f32_e32 v63, v36, v63
	v_dual_add_f32 v36, v36, v47 :: v_dual_fmamk_f32 v47, v9, 0x3ed4b147, v35
	v_dual_add_f32 v46, v46, v53 :: v_dual_mul_f32 v53, 0xbf4178ce, v8
	v_fma_f32 v35, 0x3ed4b147, v9, -v35
	s_delay_alu instid0(VALU_DEP_2) | instskip(SKIP_1) | instid1(VALU_DEP_3)
	v_dual_add_f32 v47, v47, v54 :: v_dual_fmamk_f32 v54, v9, 0xbf27a4f4, v53
	v_fma_f32 v53, 0xbf27a4f4, v9, -v53
	v_add_f32_e32 v35, v35, v49
	v_dual_mul_f32 v49, 0x3e903f40, v65 :: v_dual_add_f32 v48, v48, v55
	s_delay_alu instid0(VALU_DEP_3) | instskip(SKIP_2) | instid1(VALU_DEP_1)
	v_dual_add_f32 v43, v54, v43 :: v_dual_add_f32 v42, v53, v42
	v_mul_f32_e32 v53, 0x3f7d64f0, v65
	v_mul_f32_e32 v55, 0x3e903f40, v8
	v_fma_f32 v54, 0xbf75a155, v9, -v55
	v_fmamk_f32 v50, v9, 0xbf75a155, v55
	v_mul_f32_e32 v55, 0x3f7d64f0, v8
	s_delay_alu instid0(VALU_DEP_3) | instskip(SKIP_1) | instid1(VALU_DEP_3)
	v_dual_mul_f32 v8, 0x3f0a6770, v8 :: v_dual_add_f32 v51, v54, v51
	v_fmac_f32_e32 v34, 0x3ed4b147, v66
	v_fmamk_f32 v54, v9, 0xbe11bafb, v55
	v_fma_f32 v55, 0xbe11bafb, v9, -v55
	s_delay_alu instid0(VALU_DEP_3) | instskip(SKIP_2) | instid1(VALU_DEP_4)
	v_add_f32_e32 v34, v34, v57
	v_fma_f32 v57, 0xbf75a155, v66, -v49
	v_fmac_f32_e32 v49, 0xbf75a155, v66
	v_add_f32_e32 v55, v55, v61
	v_sub_f32_e32 v61, v10, v32
	s_delay_alu instid0(VALU_DEP_4) | instskip(SKIP_3) | instid1(VALU_DEP_3)
	v_add_f32_e32 v44, v57, v44
	v_fma_f32 v57, 0xbe11bafb, v66, -v53
	v_dual_add_f32 v49, v49, v52 :: v_dual_mul_f32 v52, 0x3f0a6770, v65
	v_fmac_f32_e32 v53, 0xbe11bafb, v66
	v_add_f32_e32 v57, v57, v60
	s_delay_alu instid0(VALU_DEP_2)
	v_add_f32_e32 v53, v53, v56
	v_fmamk_f32 v60, v9, 0x3f575c64, v8
	v_add_f32_e32 v50, v50, v59
	v_fma_f32 v8, 0x3f575c64, v9, -v8
	v_add_f32_e32 v9, v33, v11
	v_fma_f32 v59, 0x3f575c64, v66, -v52
	v_fmac_f32_e32 v52, 0x3f575c64, v66
	v_add_f32_e32 v10, v32, v10
	v_add_f32_e32 v8, v8, v37
	s_delay_alu instid0(VALU_DEP_4) | instskip(SKIP_2) | instid1(VALU_DEP_2)
	v_add_f32_e32 v56, v59, v63
	v_sub_f32_e32 v59, v11, v33
	v_mul_f32_e32 v11, 0xbf7d64f0, v61
	v_dual_sub_f32 v63, v30, v12 :: v_dual_mul_f32 v32, 0xbf7d64f0, v59
	s_delay_alu instid0(VALU_DEP_2) | instskip(SKIP_1) | instid1(VALU_DEP_2)
	v_fmamk_f32 v37, v9, 0xbe11bafb, v11
	v_fma_f32 v11, 0xbe11bafb, v9, -v11
	v_add_f32_e32 v37, v37, v47
	s_delay_alu instid0(VALU_DEP_2) | instskip(SKIP_3) | instid1(VALU_DEP_1)
	v_dual_add_f32 v11, v11, v35 :: v_dual_add_f32 v54, v54, v62
	v_mul_f32_e32 v62, 0x3f68dda4, v61
	v_add_f32_e32 v36, v52, v36
	v_mul_f32_e32 v52, 0x3e903f40, v59
	v_fma_f32 v47, 0xbf75a155, v10, -v52
	s_delay_alu instid0(VALU_DEP_1) | instskip(SKIP_2) | instid1(VALU_DEP_1)
	v_add_f32_e32 v35, v47, v48
	v_add_f32_e32 v33, v60, v64
	v_fma_f32 v60, 0xbe11bafb, v10, -v32
	v_add_f32_e32 v46, v60, v46
	v_mul_f32_e32 v60, 0x3e903f40, v61
	s_delay_alu instid0(VALU_DEP_1) | instskip(SKIP_2) | instid1(VALU_DEP_3)
	v_fmamk_f32 v47, v9, 0xbf75a155, v60
	v_fmac_f32_e32 v52, 0xbf75a155, v10
	v_fma_f32 v48, 0xbf75a155, v9, -v60
	v_add_f32_e32 v43, v47, v43
	s_delay_alu instid0(VALU_DEP_3) | instskip(SKIP_4) | instid1(VALU_DEP_3)
	v_add_f32_e32 v45, v52, v45
	v_fma_f32 v52, 0x3ed4b147, v9, -v62
	v_fmac_f32_e32 v32, 0xbe11bafb, v10
	v_dual_add_f32 v42, v48, v42 :: v_dual_fmamk_f32 v47, v9, 0x3ed4b147, v62
	v_mul_f32_e32 v48, 0xbf0a6770, v59
	v_add_f32_e32 v32, v32, v34
	s_delay_alu instid0(VALU_DEP_3) | instskip(NEXT) | instid1(VALU_DEP_3)
	v_dual_mul_f32 v34, 0x3f68dda4, v59 :: v_dual_add_f32 v47, v47, v50
	v_fma_f32 v50, 0x3f575c64, v10, -v48
	v_fmac_f32_e32 v48, 0x3f575c64, v10
	s_delay_alu instid0(VALU_DEP_3) | instskip(NEXT) | instid1(VALU_DEP_3)
	v_fma_f32 v60, 0x3ed4b147, v10, -v34
	v_add_f32_e32 v50, v50, v57
	s_delay_alu instid0(VALU_DEP_3) | instskip(NEXT) | instid1(VALU_DEP_3)
	v_add_f32_e32 v48, v48, v53
	v_add_f32_e32 v44, v60, v44
	v_mul_f32_e32 v60, 0xbf0a6770, v61
	s_delay_alu instid0(VALU_DEP_1) | instskip(NEXT) | instid1(VALU_DEP_1)
	v_fma_f32 v57, 0x3f575c64, v9, -v60
	v_add_f32_e32 v53, v57, v55
	v_sub_f32_e32 v55, v1, v7
	v_dual_add_f32 v57, v6, v0 :: v_dual_fmac_f32 v34, 0x3ed4b147, v10
	v_dual_sub_f32 v0, v0, v6 :: v_dual_add_f32 v1, v7, v1
	s_delay_alu instid0(VALU_DEP_2) | instskip(SKIP_4) | instid1(VALU_DEP_4)
	v_dual_add_f32 v34, v34, v49 :: v_dual_add_f32 v49, v52, v51
	v_fmamk_f32 v51, v9, 0x3f575c64, v60
	v_mul_f32_e32 v52, 0xbf4178ce, v59
	v_dual_mul_f32 v6, 0xbf4178ce, v55 :: v_dual_mul_f32 v59, 0xbf4178ce, v61
	v_mul_f32_e32 v7, 0xbf4178ce, v0
	v_add_f32_e32 v51, v51, v54
	s_delay_alu instid0(VALU_DEP_4) | instskip(SKIP_2) | instid1(VALU_DEP_3)
	v_fma_f32 v54, 0xbf27a4f4, v10, -v52
	v_fmac_f32_e32 v52, 0xbf27a4f4, v10
	v_fma_f32 v10, 0xbf27a4f4, v57, -v6
	v_add_f32_e32 v54, v54, v56
	v_fmamk_f32 v56, v9, 0xbf27a4f4, v59
	s_delay_alu instid0(VALU_DEP_3) | instskip(SKIP_4) | instid1(VALU_DEP_4)
	v_add_f32_e32 v10, v10, v46
	v_mul_f32_e32 v46, 0x3f7d64f0, v55
	v_fma_f32 v9, 0xbf27a4f4, v9, -v59
	v_add_f32_e32 v36, v52, v36
	v_fmac_f32_e32 v6, 0xbf27a4f4, v57
	v_fma_f32 v52, 0xbe11bafb, v57, -v46
	s_delay_alu instid0(VALU_DEP_1) | instskip(SKIP_2) | instid1(VALU_DEP_2)
	v_dual_add_f32 v35, v52, v35 :: v_dual_add_f32 v8, v9, v8
	v_fmamk_f32 v9, v1, 0xbf27a4f4, v7
	v_fma_f32 v7, 0xbf27a4f4, v1, -v7
	v_add_f32_e32 v9, v9, v37
	v_mul_f32_e32 v37, 0x3f7d64f0, v0
	s_delay_alu instid0(VALU_DEP_3) | instskip(SKIP_1) | instid1(VALU_DEP_3)
	v_add_f32_e32 v7, v7, v11
	v_dual_mul_f32 v11, 0xbf0a6770, v55 :: v_dual_add_f32 v6, v6, v32
	v_fmamk_f32 v32, v1, 0xbe11bafb, v37
	v_fma_f32 v37, 0xbe11bafb, v1, -v37
	s_delay_alu instid0(VALU_DEP_3) | instskip(SKIP_1) | instid1(VALU_DEP_4)
	v_fma_f32 v52, 0x3f575c64, v57, -v11
	v_fmac_f32_e32 v11, 0x3f575c64, v57
	v_add_f32_e32 v43, v32, v43
	s_delay_alu instid0(VALU_DEP_3) | instskip(SKIP_1) | instid1(VALU_DEP_4)
	v_dual_add_f32 v37, v37, v42 :: v_dual_add_f32 v42, v52, v44
	v_mul_f32_e32 v44, 0xbe903f40, v55
	v_dual_fmac_f32 v46, 0xbe11bafb, v57 :: v_dual_add_f32 v11, v11, v34
	v_add_f32_e32 v33, v56, v33
	s_delay_alu instid0(VALU_DEP_3) | instskip(SKIP_1) | instid1(VALU_DEP_1)
	v_fma_f32 v56, 0xbf75a155, v57, -v44
	v_fmac_f32_e32 v44, 0xbf75a155, v57
	v_dual_add_f32 v45, v46, v45 :: v_dual_add_f32 v44, v44, v48
	v_dual_sub_f32 v48, v3, v5 :: v_dual_add_f32 v3, v5, v3
	v_mul_f32_e32 v32, 0xbf0a6770, v0
	v_mul_f32_e32 v52, 0xbe903f40, v0
	s_delay_alu instid0(VALU_DEP_2) | instskip(SKIP_1) | instid1(VALU_DEP_3)
	v_fmamk_f32 v46, v1, 0x3f575c64, v32
	v_fma_f32 v32, 0x3f575c64, v1, -v32
	v_fmamk_f32 v34, v1, 0xbf75a155, v52
	s_delay_alu instid0(VALU_DEP_2) | instskip(SKIP_2) | instid1(VALU_DEP_4)
	v_dual_add_f32 v46, v46, v47 :: v_dual_add_f32 v47, v32, v49
	v_add_f32_e32 v49, v56, v50
	v_fma_f32 v50, 0xbf75a155, v1, -v52
	v_add_f32_e32 v34, v34, v51
	s_delay_alu instid0(VALU_DEP_2) | instskip(SKIP_2) | instid1(VALU_DEP_2)
	v_dual_add_f32 v50, v50, v53 :: v_dual_add_f32 v53, v4, v2
	v_sub_f32_e32 v2, v2, v4
	v_dual_mul_f32 v32, 0x3f68dda4, v55 :: v_dual_sub_f32 v55, v28, v14
	v_mul_f32_e32 v4, 0xbe903f40, v2
	s_delay_alu instid0(VALU_DEP_2) | instskip(NEXT) | instid1(VALU_DEP_1)
	v_fma_f32 v51, 0x3ed4b147, v57, -v32
	v_dual_fmac_f32 v32, 0x3ed4b147, v57 :: v_dual_add_f32 v51, v51, v54
	v_mul_f32_e32 v54, 0xbe903f40, v48
	s_delay_alu instid0(VALU_DEP_2) | instskip(SKIP_1) | instid1(VALU_DEP_1)
	v_add_f32_e32 v5, v32, v36
	v_mul_f32_e32 v0, 0x3f68dda4, v0
	v_fmamk_f32 v52, v1, 0x3ed4b147, v0
	v_fma_f32 v0, 0x3ed4b147, v1, -v0
	v_fma_f32 v1, 0xbf75a155, v53, -v54
	v_fmac_f32_e32 v54, 0xbf75a155, v53
	s_delay_alu instid0(VALU_DEP_4) | instskip(NEXT) | instid1(VALU_DEP_3)
	v_add_f32_e32 v52, v52, v33
	v_dual_add_f32 v0, v0, v8 :: v_dual_add_f32 v71, v1, v10
	v_mul_f32_e32 v1, 0x3f0a6770, v48
	v_fmamk_f32 v8, v3, 0xbf75a155, v4
	v_fma_f32 v4, 0xbf75a155, v3, -v4
	v_mul_f32_e32 v10, 0x3f0a6770, v2
	s_delay_alu instid0(VALU_DEP_4) | instskip(SKIP_1) | instid1(VALU_DEP_4)
	v_fma_f32 v36, 0x3f575c64, v53, -v1
	v_fmac_f32_e32 v1, 0x3f575c64, v53
	v_dual_add_f32 v33, v4, v7 :: v_dual_add_f32 v32, v54, v6
	v_mul_f32_e32 v6, 0xbf4178ce, v48
	v_add_f32_e32 v72, v8, v9
	s_delay_alu instid0(VALU_DEP_4) | instskip(SKIP_1) | instid1(VALU_DEP_4)
	v_dual_fmamk_f32 v4, v3, 0x3f575c64, v10 :: v_dual_add_f32 v75, v1, v45
	v_mul_f32_e32 v1, 0x3f68dda4, v48
	v_fma_f32 v8, 0xbf27a4f4, v53, -v6
	v_fma_f32 v7, 0x3f575c64, v3, -v10
	s_delay_alu instid0(VALU_DEP_4) | instskip(SKIP_1) | instid1(VALU_DEP_4)
	v_add_f32_e32 v74, v4, v43
	v_dual_mul_f32 v4, 0xbf4178ce, v2 :: v_dual_add_f32 v73, v36, v35
	v_add_f32_e32 v77, v8, v42
	v_fma_f32 v8, 0x3ed4b147, v53, -v1
	v_fmac_f32_e32 v1, 0x3ed4b147, v53
	v_add_f32_e32 v76, v7, v37
	v_fmamk_f32 v7, v3, 0xbf27a4f4, v4
	v_fma_f32 v4, 0xbf27a4f4, v3, -v4
	v_add_f32_e32 v81, v8, v49
	v_add_f32_e32 v83, v1, v44
	v_sub_f32_e32 v1, v23, v41
	v_add_f32_e32 v78, v7, v46
	v_mul_f32_e32 v7, 0x3f68dda4, v2
	v_add_f32_e32 v46, v40, v22
	v_mul_f32_e32 v2, 0xbf7d64f0, v2
	v_mul_f32_e32 v9, 0xbf4178ce, v1
	v_fmac_f32_e32 v6, 0xbf27a4f4, v53
	s_delay_alu instid0(VALU_DEP_1) | instskip(SKIP_1) | instid1(VALU_DEP_4)
	v_dual_mul_f32 v36, 0xbf68dda4, v1 :: v_dual_add_f32 v79, v6, v11
	v_fmamk_f32 v6, v3, 0x3ed4b147, v7
	v_fma_f32 v11, 0xbf27a4f4, v46, -v9
	v_fma_f32 v7, 0x3ed4b147, v3, -v7
	s_delay_alu instid0(VALU_DEP_3) | instskip(NEXT) | instid1(VALU_DEP_3)
	v_add_f32_e32 v82, v6, v34
	v_dual_mul_f32 v34, 0xbf0a6770, v1 :: v_dual_add_f32 v11, v11, v20
	v_fmamk_f32 v6, v3, 0xbe11bafb, v2
	v_fma_f32 v2, 0xbe11bafb, v3, -v2
	s_delay_alu instid0(VALU_DEP_3) | instskip(NEXT) | instid1(VALU_DEP_3)
	v_fmamk_f32 v3, v46, 0x3f575c64, v34
	v_add_f32_e32 v86, v6, v52
	v_sub_f32_e32 v6, v22, v40
	s_delay_alu instid0(VALU_DEP_4) | instskip(NEXT) | instid1(VALU_DEP_4)
	v_add_f32_e32 v88, v2, v0
	v_dual_add_f32 v2, v3, v20 :: v_dual_mul_f32 v3, 0xbf7d64f0, v1
	v_dual_mul_f32 v1, 0xbe903f40, v1 :: v_dual_add_f32 v80, v4, v47
	v_add_f32_e32 v47, v41, v23
	v_mul_f32_e32 v35, 0xbf0a6770, v6
	v_mul_f32_e32 v45, 0xbf68dda4, v6
	v_dual_mul_f32 v37, 0xbf4178ce, v6 :: v_dual_add_f32 v52, v14, v28
	v_add_f32_e32 v84, v7, v50
	v_mul_f32_e32 v7, 0xbf7d64f0, v6
	v_mul_f32_e32 v6, 0xbe903f40, v6
	;; [unrolled: 1-line block ×3, first 2 shown]
	v_fma_f32 v0, 0x3f575c64, v47, -v35
	v_sub_f32_e32 v50, v29, v15
	s_delay_alu instid0(VALU_DEP_4) | instskip(NEXT) | instid1(VALU_DEP_4)
	v_fmamk_f32 v44, v47, 0xbf75a155, v6
	v_fma_f32 v8, 0xbe11bafb, v53, -v4
	v_fmac_f32_e32 v4, 0xbe11bafb, v53
	v_add_f32_e32 v53, v15, v29
	v_add_f32_e32 v0, v0, v21
	v_add_f32_e32 v54, v44, v21
	v_mul_f32_e32 v44, 0xbf68dda4, v55
	v_add_f32_e32 v85, v8, v51
	v_add_f32_e32 v87, v4, v5
	v_fma_f32 v5, 0x3ed4b147, v47, -v45
	v_mul_f32_e32 v51, 0xbf4178ce, v55
	v_fma_f32 v57, 0x3ed4b147, v53, -v44
	s_delay_alu instid0(VALU_DEP_3) | instskip(NEXT) | instid1(VALU_DEP_3)
	v_dual_mul_f32 v48, 0xbf4178ce, v50 :: v_dual_add_f32 v5, v5, v21
	v_fma_f32 v60, 0xbf27a4f4, v53, -v51
	s_delay_alu instid0(VALU_DEP_3) | instskip(SKIP_2) | instid1(VALU_DEP_4)
	v_dual_add_f32 v0, v57, v0 :: v_dual_mul_f32 v57, 0x3e903f40, v55
	v_fma_f32 v43, 0xbf75a155, v46, -v1
	v_fmac_f32_e32 v1, 0xbf75a155, v46
	v_dual_add_f32 v5, v60, v5 :: v_dual_fmamk_f32 v42, v47, 0xbf27a4f4, v37
	v_fma_f32 v37, 0xbf27a4f4, v47, -v37
	v_fmamk_f32 v60, v53, 0xbf75a155, v57
	s_delay_alu instid0(VALU_DEP_4) | instskip(SKIP_3) | instid1(VALU_DEP_4)
	v_dual_add_f32 v1, v1, v20 :: v_dual_fmamk_f32 v10, v47, 0xbe11bafb, v7
	v_fma_f32 v7, 0xbe11bafb, v47, -v7
	v_fmac_f32_e32 v9, 0xbf27a4f4, v46
	v_add_f32_e32 v49, v37, v21
	v_dual_mul_f32 v37, 0xbf68dda4, v50 :: v_dual_add_f32 v10, v10, v21
	s_delay_alu instid0(VALU_DEP_4) | instskip(SKIP_2) | instid1(VALU_DEP_4)
	v_add_f32_e32 v7, v7, v21
	v_fma_f32 v57, 0xbf75a155, v53, -v57
	v_dual_add_f32 v9, v9, v20 :: v_dual_fmamk_f32 v4, v46, 0x3ed4b147, v36
	v_add_f32_e32 v10, v60, v10
	v_mul_f32_e32 v60, 0x3f7d64f0, v55
	s_delay_alu instid0(VALU_DEP_4) | instskip(SKIP_2) | instid1(VALU_DEP_4)
	v_dual_fmamk_f32 v56, v52, 0x3ed4b147, v37 :: v_dual_add_f32 v7, v57, v7
	v_fma_f32 v8, 0xbe11bafb, v46, -v3
	v_add_f32_e32 v4, v4, v20
	v_fma_f32 v57, 0xbe11bafb, v53, -v60
	v_fmac_f32_e32 v3, 0xbe11bafb, v46
	v_fmamk_f32 v59, v52, 0xbf27a4f4, v48
	v_add_f32_e32 v8, v8, v20
	v_add_f32_e32 v43, v43, v20
	v_dual_add_f32 v57, v57, v49 :: v_dual_add_f32 v2, v56, v2
	v_dual_mul_f32 v56, 0x3e903f40, v50 :: v_dual_add_f32 v3, v3, v20
	v_dual_add_f32 v4, v59, v4 :: v_dual_mul_f32 v59, 0x3f7d64f0, v50
	v_mul_f32_e32 v50, 0x3f0a6770, v50
	s_delay_alu instid0(VALU_DEP_3) | instskip(SKIP_1) | instid1(VALU_DEP_2)
	v_fma_f32 v61, 0xbf75a155, v52, -v56
	v_fmac_f32_e32 v56, 0xbf75a155, v52
	v_dual_mul_f32 v55, 0x3f0a6770, v55 :: v_dual_add_f32 v8, v61, v8
	v_fma_f32 v61, 0xbe11bafb, v52, -v59
	s_delay_alu instid0(VALU_DEP_3) | instskip(SKIP_1) | instid1(VALU_DEP_3)
	v_dual_add_f32 v3, v56, v3 :: v_dual_fmamk_f32 v56, v53, 0xbe11bafb, v60
	v_fma_f32 v60, 0x3f575c64, v52, -v50
	v_add_f32_e32 v11, v61, v11
	v_sub_f32_e32 v61, v31, v13
	s_delay_alu instid0(VALU_DEP_3) | instskip(SKIP_2) | instid1(VALU_DEP_1)
	v_add_f32_e32 v43, v60, v43
	v_add_f32_e32 v60, v12, v30
	;; [unrolled: 1-line block ×3, first 2 shown]
	v_dual_mul_f32 v49, 0xbf7d64f0, v61 :: v_dual_add_f32 v42, v56, v42
	v_fmamk_f32 v56, v53, 0x3f575c64, v55
	s_delay_alu instid0(VALU_DEP_1) | instskip(SKIP_1) | instid1(VALU_DEP_4)
	v_add_f32_e32 v62, v56, v54
	v_fma_f32 v54, 0x3f575c64, v53, -v55
	v_fmamk_f32 v55, v60, 0xbe11bafb, v49
	v_mul_f32_e32 v56, 0x3e903f40, v63
	s_delay_alu instid0(VALU_DEP_2) | instskip(NEXT) | instid1(VALU_DEP_1)
	v_dual_add_f32 v2, v55, v2 :: v_dual_mul_f32 v55, 0x3f68dda4, v61
	v_fma_f32 v67, 0x3ed4b147, v60, -v55
	v_fmac_f32_e32 v55, 0x3ed4b147, v60
	s_delay_alu instid0(VALU_DEP_1) | instskip(SKIP_1) | instid1(VALU_DEP_1)
	v_add_f32_e32 v3, v55, v3
	v_fma_f32 v6, 0xbf75a155, v47, -v6
	v_add_f32_e32 v6, v6, v21
	s_delay_alu instid0(VALU_DEP_1) | instskip(SKIP_1) | instid1(VALU_DEP_1)
	v_add_f32_e32 v6, v54, v6
	v_mul_f32_e32 v54, 0x3e903f40, v61
	v_fmamk_f32 v65, v60, 0xbf75a155, v54
	s_delay_alu instid0(VALU_DEP_1) | instskip(SKIP_3) | instid1(VALU_DEP_3)
	v_dual_add_f32 v4, v65, v4 :: v_dual_mul_f32 v65, 0xbf0a6770, v61
	v_fmac_f32_e32 v59, 0xbe11bafb, v52
	v_fmac_f32_e32 v50, 0x3f575c64, v52
	v_mul_f32_e32 v61, 0xbf4178ce, v61
	v_add_f32_e32 v9, v59, v9
	s_delay_alu instid0(VALU_DEP_3) | instskip(SKIP_2) | instid1(VALU_DEP_2)
	v_add_f32_e32 v1, v50, v1
	v_add_f32_e32 v59, v13, v31
	v_mul_f32_e32 v50, 0xbf7d64f0, v63
	v_fma_f32 v66, 0xbf75a155, v59, -v56
	s_delay_alu instid0(VALU_DEP_2) | instskip(NEXT) | instid1(VALU_DEP_1)
	v_fma_f32 v64, 0xbe11bafb, v59, -v50
	v_dual_add_f32 v5, v66, v5 :: v_dual_add_f32 v0, v64, v0
	v_mul_f32_e32 v64, 0x3f68dda4, v63
	s_delay_alu instid0(VALU_DEP_1) | instskip(SKIP_1) | instid1(VALU_DEP_2)
	v_fmamk_f32 v66, v59, 0x3ed4b147, v64
	v_fma_f32 v64, 0x3ed4b147, v59, -v64
	v_add_f32_e32 v10, v66, v10
	v_mul_f32_e32 v66, 0xbf0a6770, v63
	v_mul_f32_e32 v63, 0xbf4178ce, v63
	s_delay_alu instid0(VALU_DEP_4) | instskip(NEXT) | instid1(VALU_DEP_3)
	v_add_f32_e32 v7, v64, v7
	v_fmamk_f32 v55, v59, 0x3f575c64, v66
	v_fma_f32 v64, 0x3f575c64, v59, -v66
	s_delay_alu instid0(VALU_DEP_2)
	v_add_f32_e32 v42, v55, v42
	v_fmamk_f32 v55, v59, 0xbf27a4f4, v63
	v_add_f32_e32 v8, v67, v8
	v_fma_f32 v67, 0x3f575c64, v60, -v65
	v_fmac_f32_e32 v65, 0x3f575c64, v60
	v_fma_f32 v63, 0xbf27a4f4, v59, -v63
	s_delay_alu instid0(VALU_DEP_3) | instskip(NEXT) | instid1(VALU_DEP_3)
	v_add_f32_e32 v11, v67, v11
	v_add_f32_e32 v9, v65, v9
	;; [unrolled: 1-line block ×3, first 2 shown]
	v_mul_f32_e32 v65, 0x3f7d64f0, v69
	v_fma_f32 v66, 0xbf27a4f4, v60, -v61
	v_dual_add_f32 v64, v64, v57 :: v_dual_fmac_f32 v61, 0xbf27a4f4, v60
	v_dual_mul_f32 v57, 0xbf4178ce, v69 :: v_dual_add_f32 v62, v55, v62
	s_delay_alu instid0(VALU_DEP_3)
	v_add_f32_e32 v43, v66, v43
	v_add_f32_e32 v66, v18, v24
	v_mul_f32_e32 v55, 0xbf4178ce, v68
	v_fma_f32 v90, 0xbe11bafb, v67, -v65
	v_add_f32_e32 v1, v61, v1
	v_mul_f32_e32 v61, 0x3f7d64f0, v68
	s_delay_alu instid0(VALU_DEP_4) | instskip(NEXT) | instid1(VALU_DEP_4)
	v_fmamk_f32 v70, v66, 0xbf27a4f4, v55
	v_dual_add_f32 v5, v90, v5 :: v_dual_add_f32 v6, v63, v6
	v_fma_f32 v63, 0xbf27a4f4, v67, -v57
	v_mul_f32_e32 v90, 0xbe903f40, v68
	s_delay_alu instid0(VALU_DEP_2) | instskip(SKIP_2) | instid1(VALU_DEP_3)
	v_dual_add_f32 v0, v63, v0 :: v_dual_mul_f32 v63, 0xbf0a6770, v69
	v_add_f32_e32 v2, v70, v2
	v_fmamk_f32 v70, v66, 0xbe11bafb, v61
	v_fmamk_f32 v91, v67, 0x3f575c64, v63
	v_fma_f32 v63, 0x3f575c64, v67, -v63
	s_delay_alu instid0(VALU_DEP_3) | instskip(SKIP_2) | instid1(VALU_DEP_4)
	v_add_f32_e32 v4, v70, v4
	v_fma_f32 v70, 0x3f575c64, v66, -v89
	v_fmac_f32_e32 v89, 0x3f575c64, v66
	v_add_f32_e32 v7, v63, v7
	v_mul_f32_e32 v63, 0x3f68dda4, v68
	s_delay_alu instid0(VALU_DEP_4) | instskip(SKIP_3) | instid1(VALU_DEP_3)
	v_add_f32_e32 v8, v70, v8
	v_fma_f32 v70, 0xbf75a155, v66, -v90
	v_add_f32_e32 v89, v89, v3
	v_mul_f32_e32 v3, 0xbe903f40, v69
	v_dual_mul_f32 v68, 0x3f68dda4, v69 :: v_dual_add_f32 v11, v70, v11
	v_fma_f32 v70, 0x3ed4b147, v66, -v63
	s_delay_alu instid0(VALU_DEP_3) | instskip(SKIP_1) | instid1(VALU_DEP_3)
	v_fmamk_f32 v69, v67, 0xbf75a155, v3
	v_fma_f32 v3, 0xbf75a155, v67, -v3
	v_dual_fmac_f32 v63, 0x3ed4b147, v66 :: v_dual_add_f32 v94, v70, v43
	v_add_f32_e32 v70, v17, v27
	v_add_f32_e32 v10, v91, v10
	v_fmamk_f32 v91, v67, 0x3ed4b147, v68
	v_add_f32_e32 v93, v3, v64
	v_fma_f32 v3, 0x3ed4b147, v67, -v68
	v_add_f32_e32 v97, v63, v1
	v_dual_mul_f32 v63, 0xbe903f40, v96 :: v_dual_add_f32 v92, v69, v42
	v_add_f32_e32 v91, v91, v62
	v_add_f32_e32 v69, v16, v26
	;; [unrolled: 1-line block ×3, first 2 shown]
	v_mul_f32_e32 v62, 0xbe903f40, v95
	v_mul_f32_e32 v68, 0x3f0a6770, v96
	;; [unrolled: 1-line block ×3, first 2 shown]
	v_fma_f32 v3, 0xbf75a155, v70, -v63
	v_mul_f32_e32 v6, 0xbf4178ce, v95
	v_fmamk_f32 v1, v69, 0xbf75a155, v62
	v_fmac_f32_e32 v90, 0xbf75a155, v66
	s_delay_alu instid0(VALU_DEP_4) | instskip(SKIP_2) | instid1(VALU_DEP_4)
	v_add_f32_e32 v134, v3, v0
	v_mul_f32_e32 v0, 0xbf4178ce, v96
	v_fma_f32 v42, 0xbf27a4f4, v69, -v6
	v_add_f32_e32 v90, v90, v9
	v_fma_f32 v9, 0x3f575c64, v70, -v68
	v_fmac_f32_e32 v6, 0xbf27a4f4, v69
	s_delay_alu instid0(VALU_DEP_4) | instskip(SKIP_1) | instid1(VALU_DEP_4)
	v_add_f32_e32 v42, v42, v8
	v_fma_f32 v8, 0xbf27a4f4, v70, -v0
	v_add_f32_e32 v3, v9, v5
	v_mul_f32_e32 v5, 0x3f68dda4, v96
	v_add_f32_e32 v133, v1, v2
	v_fmamk_f32 v1, v69, 0x3f575c64, v64
	s_delay_alu instid0(VALU_DEP_1)
	v_add_f32_e32 v2, v1, v4
	v_mul_f32_e32 v4, 0x3f68dda4, v95
	v_fmamk_f32 v1, v70, 0xbf27a4f4, v0
	v_add_f32_e32 v0, v6, v89
	v_fmamk_f32 v6, v70, 0x3ed4b147, v5
	v_fma_f32 v5, 0x3ed4b147, v70, -v5
	v_fma_f32 v9, 0x3ed4b147, v69, -v4
	v_dual_add_f32 v43, v1, v10 :: v_dual_fmac_f32 v4, 0x3ed4b147, v69
	v_dual_mul_f32 v10, 0xbf7d64f0, v96 :: v_dual_add_f32 v1, v8, v7
	s_delay_alu instid0(VALU_DEP_3) | instskip(SKIP_2) | instid1(VALU_DEP_4)
	v_add_f32_e32 v8, v9, v11
	v_mul_f32_e32 v89, 0xbf7d64f0, v95
	v_add_f32_e32 v7, v5, v93
	v_fmamk_f32 v11, v70, 0xbe11bafb, v10
	v_dual_add_f32 v9, v6, v92 :: v_dual_add_f32 v6, v4, v90
	v_mul_lo_u16 v4, v154, 11
	v_fma_f32 v5, 0xbe11bafb, v69, -v89
	s_delay_alu instid0(VALU_DEP_4) | instskip(SKIP_4) | instid1(VALU_DEP_3)
	v_add_f32_e32 v11, v11, v91
	v_fmac_f32_e32 v89, 0xbe11bafb, v69
	v_fma_f32 v90, 0xbe11bafb, v70, -v10
	v_and_b32_e32 v92, 0xffff, v4
	v_add_f32_e32 v10, v5, v94
	v_dual_add_f32 v4, v89, v97 :: v_dual_add_f32 v5, v90, v98
	s_delay_alu instid0(VALU_DEP_3)
	v_lshlrev_b32_e32 v164, 3, v92
	ds_store_2addr_b64 v164, v[38:39], v[71:72] offset1:1
	ds_store_2addr_b64 v164, v[73:74], v[77:78] offset0:2 offset1:3
	ds_store_2addr_b64 v164, v[81:82], v[85:86] offset0:4 offset1:5
	;; [unrolled: 1-line block ×4, first 2 shown]
	ds_store_b64 v164, v[32:33] offset:80
	s_and_saveexec_b32 s0, vcc_lo
	s_cbranch_execz .LBB0_7
; %bb.6:
	v_dual_mul_f32 v38, 0x3ed4b147, v46 :: v_dual_mul_f32 v39, 0x3ed4b147, v47
	v_dual_mul_f32 v32, 0x3f575c64, v46 :: v_dual_mul_f32 v33, 0x3f575c64, v47
	;; [unrolled: 1-line block ×5, first 2 shown]
	v_dual_mul_f32 v60, 0xbf75a155, v60 :: v_dual_add_f32 v39, v45, v39
	v_dual_mul_f32 v45, 0xbf75a155, v59 :: v_dual_sub_f32 v36, v38, v36
	v_mul_f32_e32 v59, 0xbf27a4f4, v66
	s_delay_alu instid0(VALU_DEP_3) | instskip(SKIP_4) | instid1(VALU_DEP_4)
	v_dual_mul_f32 v66, 0xbe11bafb, v66 :: v_dual_add_f32 v39, v39, v21
	v_add_f32_e32 v51, v51, v53
	v_dual_mul_f32 v73, 0xbf27a4f4, v67 :: v_dual_sub_f32 v48, v52, v48
	v_dual_add_f32 v45, v56, v45 :: v_dual_add_f32 v22, v22, v20
	v_add_f32_e32 v36, v36, v20
	v_dual_mul_f32 v52, 0x3f575c64, v70 :: v_dual_add_f32 v39, v51, v39
	s_delay_alu instid0(VALU_DEP_3) | instskip(NEXT) | instid1(VALU_DEP_3)
	v_dual_mul_f32 v53, 0xbe11bafb, v67 :: v_dual_add_f32 v28, v28, v22
	v_add_f32_e32 v36, v48, v36
	s_delay_alu instid0(VALU_DEP_3) | instskip(NEXT) | instid1(VALU_DEP_3)
	v_dual_sub_f32 v48, v60, v54 :: v_dual_add_f32 v39, v45, v39
	v_dual_add_f32 v45, v65, v53 :: v_dual_add_f32 v28, v30, v28
	v_dual_add_f32 v33, v35, v33 :: v_dual_sub_f32 v30, v32, v34
	v_dual_mul_f32 v38, 0xbf75a155, v69 :: v_dual_mul_f32 v67, 0xbf75a155, v70
	s_delay_alu instid0(VALU_DEP_3) | instskip(SKIP_4) | instid1(VALU_DEP_4)
	v_add_f32_e32 v39, v45, v39
	v_add_f32_e32 v45, v68, v52
	;; [unrolled: 1-line block ×3, first 2 shown]
	v_sub_f32_e32 v28, v46, v37
	v_dual_add_f32 v23, v23, v21 :: v_dual_add_f32 v20, v30, v20
	v_add_f32_e32 v22, v45, v39
	s_delay_alu instid0(VALU_DEP_4) | instskip(NEXT) | instid1(VALU_DEP_3)
	v_dual_add_f32 v24, v26, v24 :: v_dual_add_f32 v21, v33, v21
	v_add_f32_e32 v23, v29, v23
	s_delay_alu instid0(VALU_DEP_4) | instskip(NEXT) | instid1(VALU_DEP_3)
	v_dual_sub_f32 v29, v66, v61 :: v_dual_add_f32 v20, v28, v20
	v_add_f32_e32 v16, v16, v24
	s_delay_alu instid0(VALU_DEP_3) | instskip(SKIP_1) | instid1(VALU_DEP_2)
	v_dual_add_f32 v24, v57, v73 :: v_dual_add_f32 v23, v31, v23
	v_dual_mul_f32 v51, 0x3f575c64, v69 :: v_dual_add_f32 v36, v48, v36
	v_dual_add_f32 v16, v18, v16 :: v_dual_add_f32 v23, v25, v23
	v_add_f32_e32 v25, v44, v47
	s_delay_alu instid0(VALU_DEP_2) | instskip(SKIP_1) | instid1(VALU_DEP_2)
	v_add_f32_e32 v12, v12, v16
	v_add_f32_e32 v16, v63, v67
	v_dual_add_f32 v23, v27, v23 :: v_dual_add_f32 v14, v14, v12
	s_delay_alu instid0(VALU_DEP_1) | instskip(SKIP_2) | instid1(VALU_DEP_4)
	v_add_f32_e32 v17, v17, v23
	v_sub_f32_e32 v23, v71, v49
	v_add_f32_e32 v21, v25, v21
	v_dual_add_f32 v25, v50, v72 :: v_dual_add_f32 v14, v40, v14
	s_delay_alu instid0(VALU_DEP_4) | instskip(NEXT) | instid1(VALU_DEP_4)
	v_add_f32_e32 v17, v19, v17
	v_add_f32_e32 v18, v23, v20
	v_sub_f32_e32 v19, v59, v55
	s_delay_alu instid0(VALU_DEP_4) | instskip(SKIP_2) | instid1(VALU_DEP_3)
	v_add_f32_e32 v21, v25, v21
	v_add_f32_e32 v29, v29, v36
	;; [unrolled: 1-line block ×3, first 2 shown]
	v_dual_add_f32 v17, v19, v18 :: v_dual_add_f32 v20, v24, v21
	s_delay_alu instid0(VALU_DEP_2) | instskip(SKIP_1) | instid1(VALU_DEP_2)
	v_dual_sub_f32 v18, v38, v62 :: v_dual_add_f32 v15, v15, v13
	v_sub_f32_e32 v19, v51, v64
	v_dual_add_f32 v13, v16, v20 :: v_dual_add_f32 v12, v18, v17
	s_delay_alu instid0(VALU_DEP_3) | instskip(NEXT) | instid1(VALU_DEP_3)
	v_add_f32_e32 v15, v41, v15
	v_dual_add_f32 v21, v19, v29 :: v_dual_lshlrev_b32 v16, 3, v155
	ds_store_2addr_b64 v16, v[14:15], v[12:13] offset1:1
	ds_store_2addr_b64 v16, v[21:22], v[42:43] offset0:2 offset1:3
	ds_store_2addr_b64 v16, v[8:9], v[10:11] offset0:4 offset1:5
	ds_store_2addr_b64 v16, v[4:5], v[6:7] offset0:6 offset1:7
	ds_store_2addr_b64 v16, v[0:1], v[2:3] offset0:8 offset1:9
	ds_store_b64 v16, v[133:134] offset:80
.LBB0_7:
	s_wait_alu 0xfffe
	s_or_b32 exec_lo, exec_lo, s0
	v_add_nc_u32_e32 v20, 0x1c00, v153
	v_add_nc_u32_e32 v12, 0x1400, v153
	v_add_nc_u32_e32 v21, 0x400, v153
	v_add_nc_u32_e32 v28, 0x2000, v153
	v_add_nc_u32_e32 v32, 0xc00, v153
	v_add_nc_u32_e32 v36, 0x2800, v153
	global_wb scope:SCOPE_SE
	s_wait_dscnt 0x0
	s_barrier_signal -1
	s_barrier_wait -1
	global_inv scope:SCOPE_SE
	ds_load_2addr_b64 v[16:19], v153 offset1:110
	ds_load_2addr_b64 v[12:15], v12 offset0:20 offset1:185
	ds_load_2addr_b64 v[24:27], v20 offset0:39 offset1:149
	;; [unrolled: 1-line block ×6, first 2 shown]
	v_cmp_gt_u16_e64 s0, 55, v154
	s_delay_alu instid0(VALU_DEP_1)
	s_and_saveexec_b32 s1, s0
	s_cbranch_execz .LBB0_9
; %bb.8:
	ds_load_b64 v[42:43], v153 offset:6160
	ds_load_b64 v[8:9], v153 offset:12760
.LBB0_9:
	s_wait_alu 0xfffe
	s_or_b32 exec_lo, exec_lo, s1
	v_and_b32_e32 v40, 0xff, v154
	v_add_co_u32 v45, null, 0x1b8, v154
	v_add_co_u32 v47, null, 0x226, v154
	s_delay_alu instid0(VALU_DEP_3) | instskip(SKIP_3) | instid1(VALU_DEP_4)
	v_mul_lo_u16 v41, 0x75, v40
	v_and_b32_e32 v40, 0xff, v58
	v_add_co_u32 v49, null, 0x294, v154
	v_add_nc_u16 v50, v154, 0x302
	v_lshrrev_b16 v41, 8, v41
	s_delay_alu instid0(VALU_DEP_4)
	v_mul_lo_u16 v46, 0x75, v40
	v_and_b32_e32 v51, 0xffff, v45
	v_and_b32_e32 v53, 0xffff, v47
	;; [unrolled: 1-line block ×3, first 2 shown]
	v_sub_nc_u16 v48, v154, v41
	v_lshrrev_b16 v52, 8, v46
	v_and_b32_e32 v55, 0xffff, v50
	v_mul_u32_u24_e32 v46, 0xba2f, v51
	v_mul_u32_u24_e32 v51, 0xba2f, v53
	v_lshrrev_b16 v48, 1, v48
	v_sub_nc_u16 v59, v58, v52
	v_mul_u32_u24_e32 v53, 0xba2f, v54
	v_mul_u32_u24_e32 v54, 0xba2f, v55
	v_lshrrev_b32_e32 v55, 19, v46
	v_and_b32_e32 v48, 0x7f, v48
	v_lshrrev_b32_e32 v51, 19, v51
	v_lshrrev_b32_e32 v53, 19, v53
	;; [unrolled: 1-line block ×3, first 2 shown]
	v_add_co_u32 v56, s1, 0xdc, v154
	v_add_nc_u16 v41, v48, v41
	v_lshrrev_b16 v48, 1, v59
	v_mul_lo_u16 v60, v51, 11
	v_add_co_u32 v44, null, 0x14a, v154
	s_delay_alu instid0(VALU_DEP_4) | instskip(NEXT) | instid1(VALU_DEP_4)
	v_lshrrev_b16 v59, 3, v41
	v_and_b32_e32 v41, 0x7f, v48
	v_mul_lo_u16 v48, v55, 11
	v_sub_nc_u16 v60, v47, v60
	s_wait_alu 0xf1ff
	v_add_co_ci_u32_e64 v57, null, 0, 0, s1
	v_add_nc_u16 v41, v41, v52
	v_mul_lo_u16 v52, v53, 11
	v_sub_nc_u16 v61, v45, v48
	v_mul_lo_u16 v48, v54, 11
	v_mad_u16 v51, v51, 22, v60
	v_lshrrev_b16 v62, 3, v41
	v_sub_nc_u16 v49, v49, v52
	v_and_b32_e32 v47, 0xffff, v61
	v_sub_nc_u16 v50, v50, v48
	v_and_b32_e32 v48, 0xffff, v60
	v_mad_u16 v55, v55, 22, v61
	v_and_b32_e32 v52, 0xffff, v49
	v_lshlrev_b32_e32 v47, 3, v47
	v_and_b32_e32 v63, 0xffff, v50
	v_lshlrev_b32_e32 v48, 3, v48
	v_mad_u16 v156, v54, 22, v50
	v_lshlrev_b32_e32 v52, 3, v52
	global_load_b64 v[139:140], v47, s[2:3]
	v_lshlrev_b32_e32 v63, 3, v63
	global_load_b64 v[141:142], v48, s[2:3]
	v_and_b32_e32 v54, 0xffff, v59
	global_load_b64 v[137:138], v52, s[2:3]
	v_mad_u16 v49, v53, 22, v49
	global_load_b64 v[135:136], v63, s[2:3]
	v_and_b32_e32 v41, 0xffff, v56
	v_and_b32_e32 v53, 0xffff, v55
	v_mul_lo_u16 v63, v59, 11
	v_and_b32_e32 v55, 0xffff, v62
	v_mul_lo_u16 v65, v62, 11
	v_mul_u32_u24_e32 v48, 0xba2f, v41
	v_lshlrev_b32_e32 v159, 3, v53
	v_sub_nc_u16 v63, v154, v63
	v_and_b32_e32 v49, 0xffff, v49
	v_sub_nc_u16 v65, v58, v65
	v_lshrrev_b32_e32 v52, 19, v48
	s_delay_alu instid0(VALU_DEP_3) | instskip(NEXT) | instid1(VALU_DEP_2)
	v_lshlrev_b32_e32 v157, 3, v49
	v_mul_lo_u16 v66, v52, 11
	s_delay_alu instid0(VALU_DEP_1) | instskip(NEXT) | instid1(VALU_DEP_1)
	v_sub_nc_u16 v66, v56, v66
	v_mad_u16 v52, v52, 22, v66
	s_delay_alu instid0(VALU_DEP_1) | instskip(NEXT) | instid1(VALU_DEP_1)
	v_and_b32_e32 v50, 0xffff, v52
	v_lshlrev_b32_e32 v161, 3, v50
	v_mul_u32_u24_e32 v50, 22, v54
	s_wait_loadcnt_dscnt 0x100
	v_dual_mul_f32 v49, v31, v140 :: v_dual_mul_f32 v54, v38, v138
	v_mul_f32_e32 v53, v39, v138
	s_wait_loadcnt 0x0
	s_delay_alu instid0(VALU_DEP_2) | instskip(NEXT) | instid1(VALU_DEP_1)
	v_dual_mul_f32 v59, v8, v136 :: v_dual_fmac_f32 v54, v39, v137
	v_dual_fmac_f32 v59, v9, v135 :: v_dual_and_b32 v64, 0xffff, v44
	s_delay_alu instid0(VALU_DEP_3) | instskip(NEXT) | instid1(VALU_DEP_3)
	v_fma_f32 v38, v38, v137, -v53
	v_sub_f32_e32 v39, v13, v54
	s_delay_alu instid0(VALU_DEP_3) | instskip(NEXT) | instid1(VALU_DEP_3)
	v_mul_u32_u24_e32 v47, 0xba2f, v64
	v_sub_f32_e32 v38, v12, v38
	s_delay_alu instid0(VALU_DEP_3) | instskip(NEXT) | instid1(VALU_DEP_3)
	v_fma_f32 v13, v13, 2.0, -v39
	v_lshrrev_b32_e32 v64, 19, v47
	s_delay_alu instid0(VALU_DEP_3) | instskip(NEXT) | instid1(VALU_DEP_2)
	v_fma_f32 v12, v12, 2.0, -v38
	v_mul_lo_u16 v67, v64, 11
	s_delay_alu instid0(VALU_DEP_1) | instskip(NEXT) | instid1(VALU_DEP_1)
	v_sub_nc_u16 v67, v44, v67
	v_mad_u16 v64, v64, 22, v67
	s_delay_alu instid0(VALU_DEP_1) | instskip(NEXT) | instid1(VALU_DEP_1)
	v_and_b32_e32 v52, 0xffff, v64
	v_lshlrev_b32_e32 v160, 3, v52
	v_mul_u32_u24_e32 v52, 22, v55
	v_mul_f32_e32 v55, v9, v136
	v_sub_f32_e32 v9, v43, v59
	s_delay_alu instid0(VALU_DEP_2) | instskip(NEXT) | instid1(VALU_DEP_1)
	v_fma_f32 v8, v8, v135, -v55
	v_dual_sub_f32 v8, v42, v8 :: v_dual_and_b32 v63, 0xff, v63
	s_delay_alu instid0(VALU_DEP_1)
	v_lshlrev_b32_e32 v69, 3, v63
	v_add_lshl_u32 v163, v50, v63, 3
	v_mul_f32_e32 v50, v30, v140
	v_fma_f32 v30, v30, v139, -v49
	global_load_b64 v[149:150], v69, s[2:3]
	v_dual_fmac_f32 v50, v31, v139 :: v_dual_and_b32 v65, 0xff, v65
	v_and_b32_e32 v70, 0xffff, v67
	v_sub_f32_e32 v30, v32, v30
	s_delay_alu instid0(VALU_DEP_3) | instskip(NEXT) | instid1(VALU_DEP_2)
	v_sub_f32_e32 v31, v33, v50
	v_fma_f32 v32, v32, 2.0, -v30
	s_delay_alu instid0(VALU_DEP_2)
	v_fma_f32 v33, v33, 2.0, -v31
	s_wait_loadcnt 0x0
	v_mul_f32_e32 v49, v15, v150
	v_mul_f32_e32 v50, v14, v150
	v_add_lshl_u32 v162, v52, v65, 3
	v_dual_mul_f32 v52, v36, v142 :: v_dual_lshlrev_b32 v71, 3, v65
	s_delay_alu instid0(VALU_DEP_4) | instskip(SKIP_2) | instid1(VALU_DEP_4)
	v_fma_f32 v14, v14, v149, -v49
	v_and_b32_e32 v51, 0xffff, v51
	v_dual_fmac_f32 v50, v15, v149 :: v_dual_lshlrev_b32 v69, 3, v70
	v_fmac_f32_e32 v52, v37, v141
	v_and_b32_e32 v68, 0xffff, v66
	v_sub_f32_e32 v14, v16, v14
	v_dual_mul_f32 v51, v37, v142 :: v_dual_lshlrev_b32 v158, 3, v51
	s_delay_alu instid0(VALU_DEP_4) | instskip(NEXT) | instid1(VALU_DEP_4)
	v_sub_f32_e32 v37, v35, v52
	v_lshlrev_b32_e32 v68, 3, v68
	s_clause 0x2
	global_load_b64 v[147:148], v71, s[2:3]
	global_load_b64 v[145:146], v68, s[2:3]
	global_load_b64 v[143:144], v69, s[2:3]
	v_fma_f32 v36, v36, v141, -v51
	v_sub_f32_e32 v15, v17, v50
	v_fma_f32 v16, v16, 2.0, -v14
	global_wb scope:SCOPE_SE
	s_wait_loadcnt 0x0
	s_barrier_signal -1
	v_sub_f32_e32 v36, v34, v36
	v_fma_f32 v17, v17, 2.0, -v15
	s_barrier_wait -1
	global_inv scope:SCOPE_SE
	v_fma_f32 v35, v35, 2.0, -v37
	v_fma_f32 v34, v34, 2.0, -v36
	v_mul_f32_e32 v51, v25, v148
	v_dual_mul_f32 v53, v27, v146 :: v_dual_mul_f32 v52, v24, v148
	v_dual_mul_f32 v54, v26, v146 :: v_dual_mul_f32 v55, v29, v144
	v_mul_f32_e32 v59, v28, v144
	s_delay_alu instid0(VALU_DEP_4) | instskip(NEXT) | instid1(VALU_DEP_4)
	v_fma_f32 v24, v24, v147, -v51
	v_fmac_f32_e32 v52, v25, v147
	v_fma_f32 v26, v26, v145, -v53
	v_fmac_f32_e32 v54, v27, v145
	v_fma_f32 v28, v28, v143, -v55
	v_dual_fmac_f32 v59, v29, v143 :: v_dual_sub_f32 v24, v18, v24
	s_delay_alu instid0(VALU_DEP_4) | instskip(NEXT) | instid1(VALU_DEP_3)
	v_dual_sub_f32 v25, v19, v52 :: v_dual_sub_f32 v26, v20, v26
	v_dual_sub_f32 v27, v21, v54 :: v_dual_sub_f32 v28, v22, v28
	s_delay_alu instid0(VALU_DEP_3) | instskip(NEXT) | instid1(VALU_DEP_4)
	v_sub_f32_e32 v29, v23, v59
	v_fma_f32 v18, v18, 2.0, -v24
	s_delay_alu instid0(VALU_DEP_4)
	v_fma_f32 v19, v19, 2.0, -v25
	v_fma_f32 v20, v20, 2.0, -v26
	;; [unrolled: 1-line block ×5, first 2 shown]
	ds_store_2addr_b64 v163, v[16:17], v[14:15] offset1:11
	ds_store_2addr_b64 v162, v[18:19], v[24:25] offset1:11
	ds_store_2addr_b64 v161, v[20:21], v[26:27] offset1:11
	ds_store_2addr_b64 v160, v[22:23], v[28:29] offset1:11
	ds_store_2addr_b64 v159, v[32:33], v[30:31] offset1:11
	ds_store_2addr_b64 v158, v[34:35], v[36:37] offset1:11
	ds_store_2addr_b64 v157, v[12:13], v[38:39] offset1:11
	s_and_saveexec_b32 s1, s0
	s_cbranch_execz .LBB0_11
; %bb.10:
	v_and_b32_e32 v14, 0xffff, v156
	v_fma_f32 v13, v43, 2.0, -v9
	v_fma_f32 v12, v42, 2.0, -v8
	s_delay_alu instid0(VALU_DEP_3)
	v_lshlrev_b32_e32 v14, 3, v14
	ds_store_2addr_b64 v14, v[12:13], v[8:9] offset1:11
.LBB0_11:
	s_wait_alu 0xfffe
	s_or_b32 exec_lo, exec_lo, s1
	v_lshrrev_b32_e32 v67, 20, v48
	v_lshrrev_b16 v13, 1, v154
	v_lshrrev_b32_e32 v68, 20, v47
	v_lshrrev_b32_e32 v70, 20, v46
	v_lshrrev_b16 v14, 1, v40
	v_mul_lo_u16 v12, v67, 22
	global_wb scope:SCOPE_SE
	s_wait_dscnt 0x0
	s_barrier_signal -1
	v_mul_lo_u16 v16, v70, 22
	v_mul_lo_u16 v14, 0xbb, v14
	v_sub_nc_u16 v69, v56, v12
	v_and_b32_e32 v12, 0x7f, v13
	v_mul_lo_u16 v13, v68, 22
	v_sub_nc_u16 v72, v45, v16
	s_barrier_wait -1
	v_lshlrev_b16 v15, 4, v69
	v_mul_lo_u16 v12, 0xbb, v12
	v_sub_nc_u16 v71, v44, v13
	v_lshlrev_b16 v16, 4, v72
	global_inv scope:SCOPE_SE
	v_and_b32_e32 v13, 0xffff, v15
	v_lshrrev_b16 v73, 11, v12
	v_lshlrev_b16 v15, 4, v71
	v_lshrrev_b16 v74, 11, v14
	v_mul_lo_u16 v54, 0xf9, v40
	v_add_co_u32 v12, s1, s2, v13
	s_wait_alu 0xf1ff
	v_add_co_ci_u32_e64 v13, null, s3, 0, s1
	v_mul_lo_u16 v24, v73, 22
	v_mul_lo_u16 v25, v74, 22
	v_mul_u32_u24_e32 v55, 0xf83f, v41
	global_load_b128 v[20:23], v[12:13], off offset:88
	v_and_b32_e32 v14, 0xffff, v15
	v_and_b32_e32 v15, 0xffff, v16
	v_sub_nc_u16 v24, v154, v24
	v_sub_nc_u16 v25, v58, v25
	v_add_nc_u32_e32 v89, 0x1400, v153
	v_add_co_u32 v12, s1, s2, v14
	s_wait_alu 0xf1ff
	v_add_co_ci_u32_e64 v13, null, s3, 0, s1
	v_add_co_u32 v14, s1, s2, v15
	s_wait_alu 0xf1ff
	v_add_co_ci_u32_e64 v15, null, s3, 0, s1
	global_load_b128 v[16:19], v[12:13], off offset:88
	v_and_b32_e32 v75, 0xff, v24
	v_and_b32_e32 v76, 0xff, v25
	global_load_b128 v[12:15], v[14:15], off offset:88
	v_add_nc_u32_e32 v93, 0x400, v153
	v_mad_u16 v67, 0x42, v67, v69
	v_lshlrev_b32_e32 v24, 4, v75
	v_lshlrev_b32_e32 v25, 4, v76
	s_clause 0x1
	global_load_b128 v[28:31], v24, s[2:3] offset:88
	global_load_b128 v[24:27], v25, s[2:3] offset:88
	ds_load_b64 v[63:64], v153 offset:12320
	v_add_nc_u32_e32 v88, 0xc00, v153
	v_add_nc_u32_e32 v91, 0x2000, v153
	ds_load_2addr_b64 v[32:35], v153 offset1:110
	v_mad_u16 v68, 0x42, v68, v71
	v_and_b32_e32 v67, 0xffff, v67
	v_add_co_u32 v52, s1, 0xffffffbe, v154
	s_wait_alu 0xf1ff
	v_add_co_ci_u32_e64 v53, null, 0, -1, s1
	v_cmp_gt_u16_e64 s1, 0x42, v154
	v_lshlrev_b32_e32 v169, 3, v67
	v_lshrrev_b16 v77, 14, v54
	v_lshrrev_b32_e32 v78, 22, v55
	v_mad_u16 v69, 0x42, v70, v72
	s_wait_alu 0xf1ff
	v_cndmask_b32_e64 v80, v53, 0, s1
	v_cndmask_b32_e64 v79, v52, v154, s1
	v_mul_lo_u16 v81, 0x42, v78
	s_delay_alu instid0(VALU_DEP_2) | instskip(SKIP_1) | instid1(VALU_DEP_3)
	v_lshlrev_b64_e32 v[65:66], 5, v[79:80]
	v_mul_lo_u16 v80, 0x42, v77
	v_sub_nc_u16 v71, v56, v81
	v_lshlrev_b64_e32 v[56:57], 5, v[56:57]
	s_delay_alu instid0(VALU_DEP_3)
	v_sub_nc_u16 v70, v58, v80
	v_add_co_u32 v65, s1, s2, v65
	s_wait_alu 0xf1ff
	v_add_co_ci_u32_e64 v66, s1, s3, v66, s1
	s_wait_loadcnt_dscnt 0x201
	v_dual_mul_f32 v83, v64, v15 :: v_dual_lshlrev_b32 v58, 5, v58
	ds_load_2addr_b64 v[36:39], v88 offset0:56 offset1:166
	v_mul_f32_e32 v84, v63, v15
	ds_load_2addr_b64 v[40:43], v91 offset0:76 offset1:186
	ds_load_2addr_b64 v[44:47], v89 offset0:20 offset1:130
	;; [unrolled: 1-line block ×3, first 2 shown]
	v_add_nc_u32_e32 v90, 0x2800, v153
	v_and_b32_e32 v68, 0xffff, v68
	v_add_nc_u32_e32 v92, 0x1800, v153
	v_and_b32_e32 v72, 0xffff, v73
	v_fmac_f32_e32 v84, v64, v14
	v_and_b32_e32 v80, 0xff, v70
	v_lshlrev_b32_e32 v167, 3, v68
	v_lshlrev_b16 v70, 5, v71
	s_wait_dscnt 0x1
	v_mul_f32_e32 v67, v47, v21
	v_mul_f32_e32 v68, v46, v21
	s_delay_alu instid0(VALU_DEP_2)
	v_fma_f32 v46, v46, v20, -v67
	s_wait_loadcnt 0x0
	v_mul_f32_e32 v67, v43, v27
	ds_load_2addr_b64 v[52:55], v90 offset0:40 offset1:150
	ds_load_2addr_b64 v[59:62], v92 offset0:112 offset1:222
	v_and_b32_e32 v74, 0xffff, v74
	v_fmac_f32_e32 v68, v47, v20
	global_wb scope:SCOPE_SE
	s_wait_dscnt 0x0
	s_barrier_signal -1
	s_barrier_wait -1
	global_inv scope:SCOPE_SE
	v_mul_f32_e32 v81, v62, v13
	v_mul_u32_u24_e32 v73, 0x42, v74
	v_mul_f32_e32 v74, v59, v17
	v_and_b32_e32 v69, 0xffff, v69
	v_mul_f32_e32 v82, v61, v13
	s_delay_alu instid0(VALU_DEP_2) | instskip(NEXT) | instid1(VALU_DEP_2)
	v_dual_fmac_f32 v74, v60, v16 :: v_dual_lshlrev_b32 v165, 3, v69
	v_dual_fmac_f32 v82, v62, v12 :: v_dual_mul_f32 v69, v53, v23
	v_mul_f32_e32 v62, v40, v31
	s_delay_alu instid0(VALU_DEP_2) | instskip(NEXT) | instid1(VALU_DEP_3)
	v_dual_add_f32 v94, v51, v74 :: v_dual_sub_f32 v97, v82, v84
	v_fma_f32 v47, v52, v22, -v69
	v_mul_f32_e32 v69, v42, v27
	v_mul_u32_u24_e32 v72, 0x42, v72
	s_delay_alu instid0(VALU_DEP_3) | instskip(NEXT) | instid1(VALU_DEP_3)
	v_dual_mul_f32 v64, v44, v25 :: v_dual_sub_f32 v85, v46, v47
	v_fmac_f32_e32 v69, v43, v26
	s_delay_alu instid0(VALU_DEP_3) | instskip(SKIP_4) | instid1(VALU_DEP_4)
	v_add_lshl_u32 v172, v72, v75, 3
	v_mul_f32_e32 v72, v52, v23
	v_mul_f32_e32 v75, v55, v19
	v_add_lshl_u32 v171, v73, v76, 3
	v_dual_mul_f32 v73, v60, v17 :: v_dual_mul_f32 v76, v54, v19
	v_fmac_f32_e32 v72, v53, v22
	s_delay_alu instid0(VALU_DEP_4) | instskip(SKIP_1) | instid1(VALU_DEP_4)
	v_fma_f32 v53, v54, v18, -v75
	v_add_f32_e32 v75, v46, v47
	v_fma_f32 v52, v59, v16, -v73
	v_fmac_f32_e32 v76, v55, v18
	v_fma_f32 v54, v61, v12, -v81
	v_fma_f32 v55, v63, v14, -v83
	v_mul_f32_e32 v59, v39, v29
	v_dual_mul_f32 v60, v38, v29 :: v_dual_add_f32 v73, v48, v46
	v_mul_f32_e32 v61, v41, v31
	v_sub_f32_e32 v81, v68, v72
	v_dual_add_f32 v86, v52, v53 :: v_dual_sub_f32 v87, v74, v76
	v_dual_add_f32 v74, v74, v76 :: v_dual_mul_f32 v63, v45, v25
	v_add_f32_e32 v83, v49, v68
	v_add_f32_e32 v68, v68, v72
	v_dual_add_f32 v46, v50, v52 :: v_dual_add_f32 v95, v36, v54
	v_sub_f32_e32 v52, v52, v53
	v_add_f32_e32 v96, v54, v55
	v_dual_add_f32 v98, v37, v82 :: v_dual_sub_f32 v99, v54, v55
	v_dual_add_f32 v82, v82, v84 :: v_dual_fmac_f32 v51, -0.5, v74
	v_fma_f32 v54, v38, v28, -v59
	v_fmac_f32_e32 v60, v39, v28
	v_fma_f32 v59, v40, v30, -v61
	s_delay_alu instid0(VALU_DEP_4)
	v_fmac_f32_e32 v37, -0.5, v82
	v_dual_fmac_f32 v62, v41, v30 :: v_dual_add_f32 v43, v94, v76
	v_fma_f32 v61, v44, v24, -v63
	v_fmac_f32_e32 v64, v45, v24
	v_fma_f32 v63, v42, v26, -v67
	v_add_f32_e32 v39, v83, v72
	v_fma_f32 v41, -0.5, v68, v49
	v_dual_add_f32 v67, v54, v59 :: v_dual_sub_f32 v68, v60, v62
	v_add_f32_e32 v72, v33, v60
	v_dual_add_f32 v60, v60, v62 :: v_dual_sub_f32 v83, v61, v63
	v_fma_f32 v40, -0.5, v75, v48
	v_dual_add_f32 v42, v46, v53 :: v_dual_add_f32 v75, v61, v63
	v_fma_f32 v50, -0.5, v86, v50
	v_dual_add_f32 v44, v95, v55 :: v_dual_add_f32 v55, v32, v54
	v_sub_f32_e32 v76, v64, v69
	v_add_f32_e32 v82, v35, v64
	v_dual_add_f32 v64, v64, v69 :: v_dual_fmamk_f32 v53, v99, 0xbf5db3d7, v37
	v_dual_add_f32 v38, v73, v47 :: v_dual_add_f32 v45, v98, v84
	v_sub_f32_e32 v73, v54, v59
	v_fma_f32 v32, -0.5, v67, v32
	v_fma_f32 v33, -0.5, v60, v33
	;; [unrolled: 1-line block ×3, first 2 shown]
	v_dual_add_f32 v74, v34, v61 :: v_dual_fmamk_f32 v49, v52, 0xbf5db3d7, v51
	v_dual_fmamk_f32 v48, v87, 0x3f5db3d7, v50 :: v_dual_fmac_f32 v35, -0.5, v64
	v_fma_f32 v34, -0.5, v75, v34
	v_fmamk_f32 v46, v81, 0x3f5db3d7, v40
	v_dual_add_f32 v54, v55, v59 :: v_dual_fmamk_f32 v61, v68, 0x3f5db3d7, v32
	v_dual_add_f32 v55, v72, v62 :: v_dual_fmamk_f32 v62, v73, 0xbf5db3d7, v33
	v_dual_fmac_f32 v51, 0x3f5db3d7, v52 :: v_dual_fmamk_f32 v52, v97, 0x3f5db3d7, v36
	v_fmac_f32_e32 v33, 0x3f5db3d7, v73
	v_fmac_f32_e32 v32, 0xbf5db3d7, v68
	v_dual_fmac_f32 v40, 0xbf5db3d7, v81 :: v_dual_add_f32 v59, v74, v63
	v_fmamk_f32 v47, v85, 0xbf5db3d7, v41
	v_fmac_f32_e32 v41, 0x3f5db3d7, v85
	v_dual_add_f32 v60, v82, v69 :: v_dual_fmamk_f32 v63, v76, 0x3f5db3d7, v34
	v_fmamk_f32 v64, v83, 0xbf5db3d7, v35
	v_fmac_f32_e32 v34, 0xbf5db3d7, v76
	v_fmac_f32_e32 v35, 0x3f5db3d7, v83
	v_dual_fmac_f32 v50, 0xbf5db3d7, v87 :: v_dual_lshlrev_b32 v87, 5, v154
	v_fmac_f32_e32 v36, 0xbf5db3d7, v97
	v_fmac_f32_e32 v37, 0x3f5db3d7, v99
	ds_store_2addr_b64 v172, v[54:55], v[61:62] offset1:22
	ds_store_b64 v172, v[32:33] offset:352
	ds_store_2addr_b64 v171, v[59:60], v[63:64] offset1:22
	ds_store_b64 v171, v[34:35] offset:352
	;; [unrolled: 2-line block ×5, first 2 shown]
	v_lshlrev_b32_e32 v34, 5, v80
	global_wb scope:SCOPE_SE
	s_wait_dscnt 0x0
	s_barrier_signal -1
	s_barrier_wait -1
	global_inv scope:SCOPE_SE
	s_clause 0x2
	global_load_b128 v[52:55], v[65:66], off offset:440
	global_load_b128 v[48:51], v[65:66], off offset:456
	global_load_b128 v[44:47], v34, s[2:3] offset:440
	v_and_b32_e32 v32, 0xffff, v70
	v_mad_u16 v75, 0x14a, v78, v71
	s_delay_alu instid0(VALU_DEP_2)
	v_add_co_u32 v32, s1, s2, v32
	s_wait_alu 0xf1ff
	v_add_co_ci_u32_e64 v33, null, s3, 0, s1
	s_clause 0x2
	global_load_b128 v[36:39], v34, s[2:3] offset:456
	global_load_b128 v[40:43], v[32:33], off offset:440
	global_load_b128 v[32:35], v[32:33], off offset:456
	ds_load_2addr_b64 v[59:62], v93 offset0:92 offset1:202
	ds_load_2addr_b64 v[63:66], v89 offset0:20 offset1:130
	;; [unrolled: 1-line block ×3, first 2 shown]
	v_and_b32_e32 v72, 0xffff, v77
	v_cmp_lt_u16_e64 s1, 0x41, v154
	v_and_b32_e32 v83, 0xffff, v75
	ds_load_2addr_b64 v[75:78], v88 offset0:56 offset1:166
	v_mul_u32_u24_e32 v82, 0x14a, v72
	s_wait_alu 0xf1ff
	v_cndmask_b32_e64 v81, 0, 0x14a, s1
	ds_load_2addr_b64 v[71:74], v90 offset0:40 offset1:150
	v_add_co_u32 v56, s1, s2, v56
	v_add_lshl_u32 v168, v82, v80, 3
	v_add_lshl_u32 v170, v79, v81, 3
	ds_load_2addr_b64 v[79:82], v91 offset0:76 offset1:186
	s_wait_alu 0xf1ff
	v_add_co_ci_u32_e64 v57, s1, s3, v57, s1
	s_wait_loadcnt_dscnt 0x403
	v_mul_f32_e32 v100, v70, v49
	v_lshlrev_b32_e32 v166, 3, v83
	ds_load_2addr_b64 v[83:86], v153 offset1:110
	ds_load_b64 v[94:95], v153 offset:12320
	v_mul_f32_e32 v99, v63, v55
	v_mul_f32_e32 v101, v69, v49
	;; [unrolled: 1-line block ×3, first 2 shown]
	v_dual_mul_f32 v97, v61, v53 :: v_dual_mul_f32 v98, v64, v55
	s_wait_dscnt 0x3
	v_mul_f32_e32 v102, v72, v51
	s_wait_loadcnt 0x3
	v_dual_mul_f32 v103, v71, v51 :: v_dual_mul_f32 v104, v76, v45
	v_dual_mul_f32 v105, v75, v45 :: v_dual_mul_f32 v106, v66, v47
	v_fmac_f32_e32 v99, v64, v54
	v_mul_f32_e32 v107, v65, v47
	s_wait_loadcnt_dscnt 0x202
	v_mul_f32_e32 v151, v80, v37
	s_wait_loadcnt 0x1
	v_dual_mul_f32 v152, v79, v37 :: v_dual_mul_f32 v177, v68, v43
	v_mul_f32_e32 v173, v74, v39
	v_dual_mul_f32 v174, v73, v39 :: v_dual_fmac_f32 v97, v62, v52
	v_mul_f32_e32 v175, v78, v41
	s_wait_loadcnt 0x0
	v_mul_f32_e32 v179, v82, v33
	s_wait_dscnt 0x0
	v_dual_mul_f32 v181, v95, v35 :: v_dual_mul_f32 v176, v77, v41
	v_dual_fmac_f32 v101, v70, v48 :: v_dual_mul_f32 v178, v67, v43
	v_dual_fmac_f32 v103, v72, v50 :: v_dual_mul_f32 v180, v81, v33
	;; [unrolled: 1-line block ×3, first 2 shown]
	v_fma_f32 v61, v61, v52, -v96
	v_fma_f32 v62, v63, v54, -v98
	;; [unrolled: 1-line block ×6, first 2 shown]
	v_dual_fmac_f32 v107, v66, v46 :: v_dual_fmac_f32 v152, v80, v36
	v_fma_f32 v75, v79, v36, -v151
	v_fma_f32 v98, v73, v38, -v173
	v_dual_fmac_f32 v174, v74, v38 :: v_dual_sub_f32 v71, v96, v69
	v_fma_f32 v64, v77, v40, -v175
	v_fma_f32 v67, v67, v42, -v177
	;; [unrolled: 1-line block ×4, first 2 shown]
	v_dual_fmac_f32 v176, v78, v40 :: v_dual_sub_f32 v79, v97, v99
	v_dual_fmac_f32 v178, v68, v42 :: v_dual_sub_f32 v73, v62, v61
	v_dual_fmac_f32 v180, v82, v32 :: v_dual_add_f32 v81, v97, v103
	v_dual_fmac_f32 v182, v95, v34 :: v_dual_add_f32 v151, v65, v75
	v_dual_add_f32 v66, v83, v61 :: v_dual_sub_f32 v173, v105, v174
	v_dual_add_f32 v68, v62, v69 :: v_dual_sub_f32 v175, v107, v152
	v_dual_sub_f32 v70, v61, v62 :: v_dual_sub_f32 v177, v63, v65
	v_dual_add_f32 v72, v61, v96 :: v_dual_sub_f32 v179, v98, v75
	v_dual_add_f32 v76, v84, v97 :: v_dual_sub_f32 v183, v65, v63
	;; [unrolled: 1-line block ×3, first 2 shown]
	v_dual_sub_f32 v82, v97, v103 :: v_dual_sub_f32 v97, v99, v97
	v_dual_sub_f32 v74, v69, v96 :: v_dual_add_f32 v181, v63, v98
	v_dual_sub_f32 v100, v61, v96 :: v_dual_add_f32 v185, v86, v105
	v_sub_f32_e32 v104, v101, v103
	v_dual_add_f32 v106, v85, v63 :: v_dual_add_f32 v193, v59, v64
	v_dual_add_f32 v186, v107, v152 :: v_dual_sub_f32 v195, v176, v182
	v_dual_sub_f32 v190, v174, v152 :: v_dual_sub_f32 v201, v77, v94
	v_dual_sub_f32 v200, v67, v64 :: v_dual_add_f32 v211, v70, v71
	v_dual_sub_f32 v80, v103, v101 :: v_dual_add_f32 v191, v105, v174
	v_dual_sub_f32 v184, v75, v98 :: v_dual_sub_f32 v197, v64, v67
	v_dual_sub_f32 v188, v65, v75 :: v_dual_add_f32 v199, v64, v94
	v_dual_sub_f32 v105, v107, v105 :: v_dual_sub_f32 v192, v152, v174
	v_dual_add_f32 v203, v178, v180 :: v_dual_add_f32 v194, v67, v77
	v_sub_f32_e32 v207, v182, v180
	v_dual_sub_f32 v198, v94, v77 :: v_dual_sub_f32 v209, v180, v182
	v_add_f32_e32 v202, v60, v176
	v_dual_add_f32 v208, v176, v182 :: v_dual_add_f32 v105, v105, v192
	v_sub_f32_e32 v95, v99, v101
	v_dual_sub_f32 v102, v62, v69 :: v_dual_sub_f32 v187, v63, v98
	v_add_f32_e32 v210, v66, v62
	v_fma_f32 v61, -0.5, v68, v83
	v_fma_f32 v63, -0.5, v72, v83
	v_add_f32_e32 v70, v76, v99
	v_fma_f32 v62, -0.5, v78, v84
	v_dual_sub_f32 v204, v64, v94 :: v_dual_add_f32 v99, v79, v80
	v_fma_f32 v64, -0.5, v81, v84
	v_dual_sub_f32 v206, v176, v178 :: v_dual_add_f32 v97, v97, v104
	v_sub_f32_e32 v176, v178, v176
	v_add_f32_e32 v104, v177, v179
	v_fma_f32 v66, -0.5, v186, v86
	v_dual_add_f32 v177, v200, v201 :: v_dual_add_f32 v212, v73, v74
	v_add_f32_e32 v81, v210, v69
	v_add_f32_e32 v73, v106, v65
	v_fma_f32 v65, -0.5, v151, v85
	v_fma_f32 v85, -0.5, v181, v85
	v_dual_add_f32 v74, v185, v107 :: v_dual_fmamk_f32 v71, v95, 0xbf737871, v63
	v_dual_sub_f32 v196, v178, v180 :: v_dual_sub_f32 v205, v67, v77
	v_add_f32_e32 v78, v193, v67
	v_fma_f32 v67, -0.5, v194, v59
	v_dual_add_f32 v151, v197, v198 :: v_dual_fmac_f32 v86, -0.5, v191
	v_add_f32_e32 v83, v70, v101
	v_fma_f32 v59, -0.5, v199, v59
	v_dual_add_f32 v80, v202, v178 :: v_dual_fmac_f32 v63, 0x3f737871, v95
	v_fma_f32 v68, -0.5, v203, v60
	v_fmac_f32_e32 v60, -0.5, v208
	v_dual_add_f32 v106, v183, v184 :: v_dual_fmamk_f32 v69, v82, 0x3f737871, v61
	v_dual_fmac_f32 v61, 0xbf737871, v82 :: v_dual_fmamk_f32 v70, v100, 0xbf737871, v62
	v_add_f32_e32 v101, v74, v152
	v_fmamk_f32 v72, v102, 0x3f737871, v64
	v_fmac_f32_e32 v64, 0xbf737871, v102
	v_dual_fmac_f32 v62, 0x3f737871, v100 :: v_dual_add_f32 v107, v189, v190
	v_add_f32_e32 v178, v206, v207
	v_add_f32_e32 v176, v176, v209
	v_dual_add_f32 v84, v73, v75 :: v_dual_fmamk_f32 v79, v196, 0xbf737871, v59
	v_fmamk_f32 v73, v173, 0x3f737871, v65
	v_fmamk_f32 v75, v175, 0xbf737871, v85
	v_fmac_f32_e32 v85, 0x3f737871, v175
	v_dual_fmamk_f32 v74, v187, 0xbf737871, v66 :: v_dual_add_f32 v179, v80, v180
	v_fmac_f32_e32 v65, 0xbf737871, v173
	v_fmamk_f32 v76, v188, 0x3f737871, v86
	v_fmac_f32_e32 v86, 0xbf737871, v188
	v_dual_add_f32 v152, v78, v77 :: v_dual_fmac_f32 v69, 0x3f167918, v95
	v_dual_fmac_f32 v59, 0x3f737871, v196 :: v_dual_fmamk_f32 v80, v205, 0x3f737871, v60
	v_fmac_f32_e32 v60, 0xbf737871, v205
	v_dual_fmac_f32 v66, 0x3f737871, v187 :: v_dual_add_f32 v81, v81, v96
	v_fmamk_f32 v77, v195, 0x3f737871, v67
	v_dual_fmac_f32 v67, 0xbf737871, v195 :: v_dual_fmamk_f32 v78, v204, 0xbf737871, v68
	v_fmac_f32_e32 v68, 0x3f737871, v204
	v_dual_fmac_f32 v61, 0xbf167918, v95 :: v_dual_fmac_f32 v70, 0xbf167918, v102
	v_fmac_f32_e32 v71, 0x3f167918, v82
	v_dual_fmac_f32 v63, 0xbf167918, v82 :: v_dual_fmac_f32 v72, 0xbf167918, v100
	v_dual_fmac_f32 v64, 0x3f167918, v100 :: v_dual_fmac_f32 v75, 0x3f167918, v173
	;; [unrolled: 1-line block ×4, first 2 shown]
	v_dual_add_f32 v82, v83, v103 :: v_dual_add_f32 v83, v84, v98
	v_dual_fmac_f32 v86, 0x3f167918, v187 :: v_dual_fmac_f32 v77, 0x3f167918, v196
	v_dual_add_f32 v94, v152, v94 :: v_dual_fmac_f32 v59, 0xbf167918, v195
	v_dual_add_f32 v95, v179, v182 :: v_dual_fmac_f32 v76, 0xbf167918, v187
	v_fmac_f32_e32 v67, 0xbf167918, v196
	v_fmac_f32_e32 v60, 0x3f167918, v204
	v_dual_fmac_f32 v65, 0xbf167918, v175 :: v_dual_add_f32 v84, v101, v174
	v_dual_fmac_f32 v66, 0x3f167918, v188 :: v_dual_fmac_f32 v79, 0x3f167918, v195
	v_fmac_f32_e32 v78, 0xbf167918, v205
	v_fmac_f32_e32 v68, 0x3f167918, v205
	;; [unrolled: 1-line block ×3, first 2 shown]
	v_dual_fmac_f32 v69, 0x3e9e377a, v211 :: v_dual_fmac_f32 v72, 0x3e9e377a, v97
	v_dual_fmac_f32 v71, 0x3e9e377a, v212 :: v_dual_fmac_f32 v70, 0x3e9e377a, v99
	;; [unrolled: 1-line block ×8, first 2 shown]
	global_wb scope:SCOPE_SE
	s_barrier_signal -1
	s_barrier_wait -1
	global_inv scope:SCOPE_SE
	v_dual_fmac_f32 v65, 0x3e9e377a, v104 :: v_dual_fmac_f32 v66, 0x3e9e377a, v107
	v_dual_fmac_f32 v77, 0x3e9e377a, v151 :: v_dual_fmac_f32 v78, 0x3e9e377a, v178
	;; [unrolled: 1-line block ×4, first 2 shown]
	ds_store_2addr_b64 v170, v[81:82], v[69:70] offset1:66
	ds_store_2addr_b64 v170, v[71:72], v[63:64] offset0:132 offset1:198
	ds_store_b64 v170, v[61:62] offset:2112
	ds_store_2addr_b64 v168, v[83:84], v[73:74] offset1:66
	ds_store_2addr_b64 v168, v[75:76], v[85:86] offset0:132 offset1:198
	ds_store_b64 v168, v[65:66] offset:2112
	;; [unrolled: 3-line block ×3, first 2 shown]
	global_wb scope:SCOPE_SE
	s_wait_dscnt 0x0
	s_barrier_signal -1
	s_barrier_wait -1
	global_inv scope:SCOPE_SE
	s_clause 0x5
	global_load_b128 v[60:63], v87, s[2:3] offset:2552
	global_load_b128 v[76:79], v87, s[2:3] offset:2568
	;; [unrolled: 1-line block ×4, first 2 shown]
	global_load_b128 v[68:71], v[56:57], off offset:2552
	global_load_b128 v[56:59], v[56:57], off offset:2568
	ds_load_2addr_b64 v[80:83], v93 offset0:92 offset1:202
	ds_load_2addr_b64 v[84:87], v89 offset0:20 offset1:130
	;; [unrolled: 1-line block ×6, first 2 shown]
	ds_load_2addr_b64 v[177:180], v153 offset1:110
	ds_load_b64 v[106:107], v153 offset:12320
	s_add_nc_u64 s[2:3], s[12:13], 0x3390
	s_wait_loadcnt_dscnt 0x202
	v_mul_f32_e32 v191, v174, v65
	v_mul_f32_e32 v151, v83, v61
	v_dual_mul_f32 v185, v99, v79 :: v_dual_mul_f32 v152, v82, v61
	s_wait_loadcnt_dscnt 0x0
	v_mul_f32_e32 v201, v107, v59
	v_mul_f32_e32 v181, v85, v63
	v_dual_mul_f32 v182, v84, v63 :: v_dual_mul_f32 v195, v105, v69
	v_dual_mul_f32 v183, v97, v77 :: v_dual_mul_f32 v186, v98, v79
	v_mul_f32_e32 v199, v176, v57
	v_mul_f32_e32 v187, v103, v73
	v_fma_f32 v82, v82, v60, -v151
	v_fma_f32 v151, v98, v78, -v185
	v_mul_f32_e32 v189, v87, v75
	v_fmac_f32_e32 v152, v83, v60
	v_fma_f32 v83, v84, v62, -v181
	v_fma_f32 v84, v96, v76, -v183
	v_dual_sub_f32 v183, v82, v151 :: v_dual_mul_f32 v184, v96, v77
	v_mul_f32_e32 v190, v86, v75
	v_fmac_f32_e32 v186, v99, v78
	v_fmac_f32_e32 v182, v85, v62
	v_fma_f32 v85, v102, v72, -v187
	v_mul_f32_e32 v198, v94, v71
	v_dual_mul_f32 v196, v104, v69 :: v_dual_mul_f32 v197, v95, v71
	v_fma_f32 v86, v86, v74, -v189
	v_sub_f32_e32 v185, v83, v84
	v_fmac_f32_e32 v190, v87, v74
	v_fma_f32 v87, v173, v64, -v191
	v_add_f32_e32 v187, v179, v85
	v_fmac_f32_e32 v198, v95, v70
	v_add_f32_e32 v95, v83, v84
	s_delay_alu instid0(VALU_DEP_4) | instskip(SKIP_2) | instid1(VALU_DEP_3)
	v_dual_fmac_f32 v184, v97, v76 :: v_dual_add_f32 v189, v86, v87
	v_mul_f32_e32 v193, v101, v67
	v_dual_sub_f32 v97, v82, v83 :: v_dual_fmac_f32 v196, v105, v68
	v_dual_sub_f32 v105, v186, v184 :: v_dual_mul_f32 v192, v173, v65
	v_sub_f32_e32 v181, v182, v184
	v_mul_f32_e32 v188, v102, v73
	v_mul_f32_e32 v194, v100, v67
	v_fma_f32 v173, v100, v66, -v193
	v_fmac_f32_e32 v192, v174, v64
	v_dual_mul_f32 v200, v175, v57 :: v_dual_add_f32 v99, v82, v151
	v_fma_f32 v96, v104, v68, -v195
	v_fma_f32 v100, v94, v70, -v197
	;; [unrolled: 1-line block ×3, first 2 shown]
	v_sub_f32_e32 v195, v85, v86
	v_sub_f32_e32 v197, v173, v87
	v_add_f32_e32 v199, v85, v173
	v_dual_fmac_f32 v194, v101, v66 :: v_dual_sub_f32 v193, v190, v192
	v_sub_f32_e32 v101, v83, v82
	v_fmac_f32_e32 v188, v103, v72
	v_mul_f32_e32 v202, v106, v59
	v_dual_fmac_f32 v200, v176, v56 :: v_dual_sub_f32 v203, v87, v173
	v_fma_f32 v175, v106, v58, -v201
	v_dual_add_f32 v94, v177, v82 :: v_dual_add_f32 v211, v80, v96
	v_sub_f32_e32 v98, v151, v84
	v_add_f32_e32 v103, v178, v152
	v_dual_add_f32 v104, v182, v184 :: v_dual_add_f32 v209, v188, v194
	v_sub_f32_e32 v191, v188, v194
	v_dual_fmac_f32 v202, v107, v58 :: v_dual_sub_f32 v207, v86, v87
	v_dual_add_f32 v205, v190, v192 :: v_dual_sub_f32 v102, v84, v151
	v_dual_add_f32 v221, v198, v200 :: v_dual_sub_f32 v82, v152, v182
	s_delay_alu instid0(VALU_DEP_3)
	v_sub_f32_e32 v225, v202, v200
	v_dual_sub_f32 v107, v182, v152 :: v_dual_sub_f32 v176, v152, v186
	v_dual_sub_f32 v219, v174, v175 :: v_dual_add_f32 v106, v152, v186
	v_sub_f32_e32 v201, v86, v85
	v_dual_sub_f32 v206, v85, v173 :: v_dual_sub_f32 v213, v196, v202
	v_sub_f32_e32 v85, v188, v190
	v_dual_add_f32 v204, v180, v188 :: v_dual_add_f32 v229, v97, v98
	v_dual_sub_f32 v208, v194, v192 :: v_dual_add_f32 v217, v96, v175
	v_sub_f32_e32 v218, v100, v96
	v_add_f32_e32 v228, v94, v83
	v_fma_f32 v94, -0.5, v95, v177
	v_fma_f32 v95, -0.5, v104, v178
	v_add_f32_e32 v230, v101, v102
	v_add_f32_e32 v101, v103, v182
	v_fma_f32 v98, -0.5, v189, v179
	v_fma_f32 v179, -0.5, v199, v179
	v_add_f32_e32 v212, v100, v174
	v_add_f32_e32 v226, v196, v202
	v_sub_f32_e32 v152, v184, v186
	v_dual_sub_f32 v188, v190, v188 :: v_dual_sub_f32 v223, v100, v174
	v_dual_sub_f32 v210, v192, v194 :: v_dual_add_f32 v189, v85, v208
	v_dual_sub_f32 v214, v198, v200 :: v_dual_sub_f32 v227, v200, v202
	v_dual_sub_f32 v215, v96, v100 :: v_dual_sub_f32 v216, v175, v174
	v_add_f32_e32 v220, v81, v196
	v_sub_f32_e32 v224, v196, v198
	v_add_f32_e32 v86, v187, v86
	v_add_f32_e32 v85, v211, v100
	v_fma_f32 v83, -0.5, v221, v81
	v_dual_add_f32 v184, v101, v184 :: v_dual_fmamk_f32 v101, v183, 0xbf737871, v95
	v_dual_sub_f32 v222, v96, v175 :: v_dual_fmac_f32 v81, -0.5, v226
	v_fma_f32 v96, -0.5, v99, v177
	v_add_f32_e32 v177, v82, v105
	v_fma_f32 v97, -0.5, v106, v178
	v_add_f32_e32 v105, v204, v190
	v_fma_f32 v99, -0.5, v205, v180
	v_fmac_f32_e32 v180, -0.5, v209
	v_fmamk_f32 v106, v193, 0xbf737871, v179
	v_fmac_f32_e32 v179, 0x3f737871, v193
	v_dual_add_f32 v182, v195, v197 :: v_dual_add_f32 v199, v86, v87
	v_add_f32_e32 v195, v218, v219
	v_dual_sub_f32 v196, v198, v196 :: v_dual_add_f32 v197, v224, v225
	v_fma_f32 v82, -0.5, v212, v80
	v_fma_f32 v80, -0.5, v217, v80
	v_dual_add_f32 v187, v201, v203 :: v_dual_add_f32 v178, v107, v152
	v_add_f32_e32 v152, v220, v198
	v_dual_add_f32 v196, v196, v227 :: v_dual_add_f32 v201, v85, v174
	v_dual_fmamk_f32 v100, v176, 0x3f737871, v94 :: v_dual_fmamk_f32 v87, v223, 0x3f737871, v81
	v_fmac_f32_e32 v95, 0x3f737871, v183
	v_dual_fmamk_f32 v103, v185, 0x3f737871, v97 :: v_dual_add_f32 v198, v228, v84
	v_fmamk_f32 v104, v191, 0x3f737871, v98
	v_dual_fmac_f32 v98, 0xbf737871, v191 :: v_dual_add_f32 v173, v199, v173
	s_delay_alu instid0(VALU_DEP_4)
	v_dual_add_f32 v192, v105, v192 :: v_dual_fmac_f32 v95, 0x3f167918, v185
	v_dual_fmamk_f32 v105, v206, 0xbf737871, v99 :: v_dual_add_f32 v188, v188, v210
	v_fmamk_f32 v107, v207, 0x3f737871, v180
	v_fmamk_f32 v85, v222, 0xbf737871, v83
	v_fmac_f32_e32 v83, 0x3f737871, v222
	v_dual_fmamk_f32 v102, v181, 0xbf737871, v96 :: v_dual_add_f32 v151, v198, v151
	v_dual_add_f32 v190, v215, v216 :: v_dual_fmac_f32 v99, 0x3f737871, v206
	v_dual_fmac_f32 v94, 0xbf737871, v176 :: v_dual_fmac_f32 v81, 0xbf737871, v223
	v_dual_fmac_f32 v96, 0x3f737871, v181 :: v_dual_add_f32 v175, v201, v175
	v_fmac_f32_e32 v97, 0xbf737871, v185
	v_fmamk_f32 v84, v213, 0x3f737871, v82
	v_fmac_f32_e32 v180, 0xbf737871, v207
	v_fmac_f32_e32 v82, 0xbf737871, v213
	v_fmamk_f32 v86, v214, 0xbf737871, v80
	v_fmac_f32_e32 v80, 0x3f737871, v214
	v_dual_add_f32 v200, v152, v200 :: v_dual_fmac_f32 v103, 0xbf167918, v183
	v_dual_fmac_f32 v100, 0x3f167918, v181 :: v_dual_fmac_f32 v97, 0x3f167918, v183
	v_dual_fmac_f32 v102, 0x3f167918, v176 :: v_dual_fmac_f32 v99, 0x3f167918, v207
	;; [unrolled: 1-line block ×7, first 2 shown]
	v_dual_fmac_f32 v105, 0xbf167918, v207 :: v_dual_add_f32 v152, v184, v186
	v_fmac_f32_e32 v85, 0xbf167918, v223
	v_fmac_f32_e32 v84, 0x3f167918, v214
	s_delay_alu instid0(VALU_DEP_4)
	v_dual_add_f32 v174, v192, v194 :: v_dual_fmac_f32 v101, 0x3e9e377a, v177
	v_fmac_f32_e32 v180, 0x3f167918, v206
	v_fmac_f32_e32 v82, 0xbf167918, v214
	v_fmac_f32_e32 v86, 0x3f167918, v213
	v_dual_fmac_f32 v80, 0xbf167918, v213 :: v_dual_fmac_f32 v87, 0xbf167918, v222
	v_dual_fmac_f32 v100, 0x3e9e377a, v229 :: v_dual_fmac_f32 v103, 0x3e9e377a, v178
	;; [unrolled: 1-line block ×5, first 2 shown]
	v_dual_add_f32 v176, v200, v202 :: v_dual_fmac_f32 v95, 0x3e9e377a, v177
	v_dual_fmac_f32 v94, 0x3e9e377a, v229 :: v_dual_fmac_f32 v97, 0x3e9e377a, v178
	v_dual_fmac_f32 v104, 0x3e9e377a, v182 :: v_dual_fmac_f32 v99, 0x3e9e377a, v189
	;; [unrolled: 1-line block ×6, first 2 shown]
	v_fmac_f32_e32 v86, 0x3e9e377a, v195
	v_fmac_f32_e32 v80, 0x3e9e377a, v195
	ds_store_2addr_b64 v153, v[151:152], v[173:174] offset1:110
	ds_store_2addr_b64 v89, v[102:103], v[106:107] offset0:20 offset1:130
	ds_store_2addr_b64 v90, v[94:95], v[98:99] offset0:40 offset1:150
	ds_store_2addr_b64 v93, v[175:176], v[100:101] offset0:92 offset1:202
	ds_store_2addr_b64 v88, v[104:105], v[84:85] offset0:56 offset1:166
	ds_store_2addr_b64 v92, v[86:87], v[96:97] offset0:112 offset1:222
	ds_store_2addr_b64 v91, v[179:180], v[80:81] offset0:76 offset1:186
	ds_store_b64 v153, v[82:83] offset:12320
	global_wb scope:SCOPE_SE
	s_wait_dscnt 0x0
	s_barrier_signal -1
	s_barrier_wait -1
	global_inv scope:SCOPE_SE
	s_clause 0xa
	global_load_b64 v[95:96], v[108:109], off offset:13200
	global_load_b64 v[97:98], v153, s[2:3] offset:1200
	global_load_b64 v[105:106], v153, s[2:3] offset:2400
	;; [unrolled: 1-line block ×10, first 2 shown]
	ds_load_2addr_b64 v[91:94], v153 offset1:150
	s_wait_loadcnt_dscnt 0xa00
	v_mul_f32_e32 v100, v92, v96
	v_mul_f32_e32 v99, v91, v96
	s_wait_loadcnt 0x9
	v_mul_f32_e32 v101, v94, v98
	v_mul_f32_e32 v96, v93, v98
	v_fma_f32 v98, v91, v95, -v100
	v_add_nc_u32_e32 v91, 0x1000, v153
	v_fmac_f32_e32 v99, v92, v95
	v_fma_f32 v95, v93, v97, -v101
	v_fmac_f32_e32 v96, v94, v97
	v_add_nc_u32_e32 v93, 0x800, v153
	v_add_nc_u32_e32 v92, 0x1c00, v153
	;; [unrolled: 1-line block ×3, first 2 shown]
	ds_store_2addr_b64 v153, v[98:99], v[95:96] offset1:150
	ds_load_2addr_b64 v[94:97], v93 offset0:44 offset1:194
	ds_load_2addr_b64 v[101:104], v91 offset0:88 offset1:238
	;; [unrolled: 1-line block ×4, first 2 shown]
	ds_load_b64 v[98:99], v153 offset:12000
	s_wait_loadcnt_dscnt 0x804
	v_mul_f32_e32 v196, v95, v106
	v_mul_f32_e32 v107, v94, v106
	s_wait_loadcnt 0x7
	v_mul_f32_e32 v197, v97, v152
	s_wait_loadcnt_dscnt 0x603
	v_dual_mul_f32 v195, v96, v152 :: v_dual_mul_f32 v198, v102, v182
	s_wait_loadcnt 0x5
	v_dual_mul_f32 v152, v101, v182 :: v_dual_mul_f32 v199, v104, v184
	v_mul_f32_e32 v182, v103, v184
	s_wait_loadcnt_dscnt 0x402
	v_mul_f32_e32 v200, v174, v186
	s_wait_loadcnt 0x3
	v_dual_mul_f32 v184, v173, v186 :: v_dual_mul_f32 v201, v176, v188
	v_mul_f32_e32 v186, v175, v188
	s_wait_loadcnt_dscnt 0x201
	v_mul_f32_e32 v202, v178, v190
	;; [unrolled: 5-line block ×3, first 2 shown]
	v_mul_f32_e32 v192, v98, v194
	v_fma_f32 v106, v94, v105, -v196
	v_fmac_f32_e32 v107, v95, v105
	v_fma_f32 v194, v96, v151, -v197
	v_fmac_f32_e32 v195, v97, v151
	;; [unrolled: 2-line block ×9, first 2 shown]
	ds_store_2addr_b64 v93, v[106:107], v[194:195] offset0:44 offset1:194
	ds_store_2addr_b64 v91, v[151:152], v[181:182] offset0:88 offset1:238
	;; [unrolled: 1-line block ×4, first 2 shown]
	ds_store_b64 v153, v[191:192] offset:12000
	s_and_saveexec_b32 s1, vcc_lo
	s_cbranch_execz .LBB0_13
; %bb.12:
	s_wait_alu 0xfffe
	v_add_co_u32 v94, s2, s2, v153
	s_wait_alu 0xf1ff
	v_add_co_ci_u32_e64 v95, null, s3, 0, s2
	s_clause 0xa
	global_load_b64 v[98:99], v[94:95], off offset:880
	global_load_b64 v[101:102], v[94:95], off offset:2080
	;; [unrolled: 1-line block ×11, first 2 shown]
	v_add_nc_u32_e32 v104, 0x200, v153
	v_add_nc_u32_e32 v196, 0x1e00, v153
	ds_load_2addr_b64 v[94:97], v104 offset0:46 offset1:196
	s_wait_loadcnt_dscnt 0xa00
	v_mul_f32_e32 v107, v95, v99
	v_mul_f32_e32 v103, v94, v99
	s_wait_loadcnt 0x9
	v_mul_f32_e32 v173, v97, v102
	v_mul_f32_e32 v99, v96, v102
	v_fma_f32 v102, v94, v98, -v107
	v_fmac_f32_e32 v103, v95, v98
	s_delay_alu instid0(VALU_DEP_4) | instskip(NEXT) | instid1(VALU_DEP_4)
	v_fma_f32 v98, v96, v101, -v173
	v_fmac_f32_e32 v99, v97, v101
	ds_store_2addr_b64 v104, v[102:103], v[98:99] offset0:46 offset1:196
	ds_load_2addr_b64 v[94:97], v88 offset0:26 offset1:176
	ds_load_2addr_b64 v[101:104], v89 offset0:70 offset1:220
	;; [unrolled: 1-line block ×4, first 2 shown]
	ds_load_b64 v[98:99], v153 offset:12880
	s_wait_loadcnt_dscnt 0x503
	v_dual_mul_f32 v199, v102, v182 :: v_dual_mul_f32 v200, v104, v184
	s_wait_loadcnt_dscnt 0x101
	v_dual_mul_f32 v197, v95, v106 :: v_dual_mul_f32 v204, v180, v192
	v_dual_mul_f32 v107, v94, v106 :: v_dual_mul_f32 v198, v97, v152
	;; [unrolled: 1-line block ×4, first 2 shown]
	v_mul_f32_e32 v184, v173, v186
	v_mul_f32_e32 v202, v176, v188
	;; [unrolled: 1-line block ×3, first 2 shown]
	v_fmac_f32_e32 v107, v95, v105
	v_mul_f32_e32 v203, v178, v190
	v_mul_f32_e32 v188, v177, v190
	;; [unrolled: 1-line block ×3, first 2 shown]
	s_wait_loadcnt_dscnt 0x0
	v_dual_fmac_f32 v186, v176, v187 :: v_dual_mul_f32 v205, v99, v194
	v_fmac_f32_e32 v152, v102, v181
	v_dual_mul_f32 v192, v98, v194 :: v_dual_fmac_f32 v195, v97, v151
	v_fma_f32 v106, v94, v105, -v197
	v_fma_f32 v194, v96, v151, -v198
	;; [unrolled: 1-line block ×4, first 2 shown]
	v_fmac_f32_e32 v182, v104, v183
	v_fma_f32 v183, v173, v185, -v201
	v_fmac_f32_e32 v184, v174, v185
	v_fma_f32 v185, v175, v187, -v202
	v_fma_f32 v187, v177, v189, -v203
	v_fmac_f32_e32 v188, v178, v189
	v_fma_f32 v189, v179, v191, -v204
	v_fmac_f32_e32 v190, v180, v191
	;; [unrolled: 2-line block ×3, first 2 shown]
	ds_store_2addr_b64 v88, v[106:107], v[194:195] offset0:26 offset1:176
	ds_store_2addr_b64 v89, v[151:152], v[181:182] offset0:70 offset1:220
	ds_store_2addr_b64 v196, v[183:184], v[185:186] offset0:50 offset1:200
	ds_store_2addr_b64 v90, v[187:188], v[189:190] offset0:30 offset1:180
	ds_store_b64 v153, v[191:192] offset:12880
.LBB0_13:
	s_wait_alu 0xfffe
	s_or_b32 exec_lo, exec_lo, s1
	global_wb scope:SCOPE_SE
	s_wait_dscnt 0x0
	s_barrier_signal -1
	s_barrier_wait -1
	global_inv scope:SCOPE_SE
	ds_load_2addr_b64 v[104:107], v153 offset1:150
	ds_load_2addr_b64 v[96:99], v93 offset0:44 offset1:194
	ds_load_2addr_b64 v[88:91], v91 offset0:88 offset1:238
	;; [unrolled: 1-line block ×4, first 2 shown]
	ds_load_b64 v[151:152], v153 offset:12000
	s_and_saveexec_b32 s1, vcc_lo
	s_cbranch_execz .LBB0_15
; %bb.14:
	v_add_nc_u32_e32 v0, 0x200, v153
	v_add_nc_u32_e32 v1, 0xc00, v153
	;; [unrolled: 1-line block ×5, first 2 shown]
	ds_load_2addr_b64 v[84:87], v0 offset0:46 offset1:196
	ds_load_2addr_b64 v[80:83], v1 offset0:26 offset1:176
	;; [unrolled: 1-line block ×5, first 2 shown]
	ds_load_b64 v[133:134], v153 offset:12880
.LBB0_15:
	s_wait_alu 0xfffe
	s_or_b32 exec_lo, exec_lo, s1
	s_wait_dscnt 0x5
	v_dual_add_f32 v173, v104, v106 :: v_dual_add_f32 v174, v105, v107
	s_wait_dscnt 0x0
	v_dual_sub_f32 v176, v107, v152 :: v_dual_add_f32 v177, v152, v107
	v_add_f32_e32 v175, v151, v106
	s_delay_alu instid0(VALU_DEP_3) | instskip(NEXT) | instid1(VALU_DEP_3)
	v_dual_add_f32 v173, v173, v96 :: v_dual_sub_f32 v178, v106, v151
	v_mul_f32_e32 v106, 0xbf0a6770, v176
	v_add_f32_e32 v174, v174, v97
	global_wb scope:SCOPE_SE
	v_dual_add_f32 v107, v173, v98 :: v_dual_mul_f32 v180, 0x3ed4b147, v177
	s_barrier_signal -1
	v_dual_add_f32 v173, v174, v99 :: v_dual_mul_f32 v174, 0x3f575c64, v177
	s_delay_alu instid0(VALU_DEP_2) | instskip(SKIP_1) | instid1(VALU_DEP_3)
	v_dual_add_f32 v107, v107, v88 :: v_dual_mul_f32 v182, 0xbe11bafb, v177
	v_mul_f32_e32 v179, 0xbf68dda4, v176
	v_dual_add_f32 v173, v173, v89 :: v_dual_fmamk_f32 v184, v178, 0x3f0a6770, v174
	s_delay_alu instid0(VALU_DEP_3) | instskip(SKIP_2) | instid1(VALU_DEP_4)
	v_add_f32_e32 v107, v107, v90
	v_fmamk_f32 v183, v175, 0x3f575c64, v106
	v_fma_f32 v106, 0x3f575c64, v175, -v106
	v_dual_add_f32 v173, v173, v91 :: v_dual_fmac_f32 v174, 0xbf0a6770, v178
	s_delay_alu instid0(VALU_DEP_4) | instskip(NEXT) | instid1(VALU_DEP_3)
	v_dual_add_f32 v107, v107, v92 :: v_dual_fmamk_f32 v186, v178, 0x3f68dda4, v180
	v_dual_mul_f32 v181, 0xbf7d64f0, v176 :: v_dual_add_f32 v188, v104, v106
	v_fmac_f32_e32 v180, 0xbf68dda4, v178
	s_delay_alu instid0(VALU_DEP_3) | instskip(SKIP_2) | instid1(VALU_DEP_3)
	v_add_f32_e32 v107, v107, v94
	v_dual_fmamk_f32 v185, v175, 0x3ed4b147, v179 :: v_dual_add_f32 v174, v105, v174
	v_dual_add_f32 v184, v105, v184 :: v_dual_add_f32 v183, v104, v183
	v_add_f32_e32 v107, v107, v100
	v_add_f32_e32 v173, v173, v93
	v_fma_f32 v179, 0x3ed4b147, v175, -v179
	s_barrier_wait -1
	global_inv scope:SCOPE_SE
	v_dual_add_f32 v106, v107, v102 :: v_dual_add_f32 v173, v173, v95
	v_sub_f32_e32 v192, v97, v103
	v_add_f32_e32 v194, v102, v96
	v_sub_f32_e32 v96, v96, v102
	s_delay_alu instid0(VALU_DEP_4) | instskip(SKIP_4) | instid1(VALU_DEP_4)
	v_dual_add_f32 v106, v106, v151 :: v_dual_add_f32 v151, v105, v180
	v_dual_fmamk_f32 v180, v178, 0x3f7d64f0, v182 :: v_dual_add_f32 v173, v173, v101
	v_fmac_f32_e32 v182, 0xbf7d64f0, v178
	v_fmamk_f32 v187, v175, 0xbe11bafb, v181
	v_fma_f32 v181, 0xbe11bafb, v175, -v181
	v_add_f32_e32 v180, v105, v180
	v_add_f32_e32 v107, v173, v103
	v_dual_add_f32 v173, v104, v185 :: v_dual_add_f32 v182, v105, v182
	v_dual_add_f32 v185, v105, v186 :: v_dual_mul_f32 v186, 0xbf4178ce, v176
	v_mul_f32_e32 v176, 0xbe903f40, v176
	v_mul_f32_e32 v195, 0xbf68dda4, v192
	v_add_f32_e32 v181, v104, v181
	v_add_f32_e32 v196, v7, v9
	v_fmamk_f32 v189, v175, 0xbf27a4f4, v186
	v_fma_f32 v186, 0xbf27a4f4, v175, -v186
	v_dual_add_f32 v107, v107, v152 :: v_dual_add_f32 v152, v104, v187
	v_mul_f32_e32 v187, 0xbf27a4f4, v177
	s_delay_alu instid0(VALU_DEP_3) | instskip(SKIP_1) | instid1(VALU_DEP_3)
	v_dual_mul_f32 v177, 0xbf75a155, v177 :: v_dual_add_f32 v186, v104, v186
	v_dual_fmamk_f32 v102, v194, 0x3ed4b147, v195 :: v_dual_add_f32 v189, v104, v189
	v_fmamk_f32 v190, v178, 0x3f4178ce, v187
	s_delay_alu instid0(VALU_DEP_3)
	v_fmamk_f32 v193, v178, 0x3e903f40, v177
	v_fmac_f32_e32 v187, 0xbf4178ce, v178
	v_fmac_f32_e32 v177, 0xbe903f40, v178
	v_fma_f32 v178, 0x3ed4b147, v194, -v195
	v_fmamk_f32 v191, v175, 0xbf75a155, v176
	v_dual_add_f32 v179, v104, v179 :: v_dual_add_f32 v190, v105, v190
	v_add_f32_e32 v102, v102, v183
	s_delay_alu instid0(VALU_DEP_4) | instskip(SKIP_4) | instid1(VALU_DEP_4)
	v_add_f32_e32 v178, v178, v188
	v_dual_mul_f32 v188, 0x3e903f40, v192 :: v_dual_add_f32 v97, v103, v97
	v_fma_f32 v103, 0xbf75a155, v175, -v176
	v_dual_add_f32 v191, v104, v191 :: v_dual_add_f32 v176, v105, v193
	v_add_f32_e32 v195, v5, v11
	v_mul_f32_e32 v175, 0x3ed4b147, v97
	s_delay_alu instid0(VALU_DEP_4) | instskip(SKIP_2) | instid1(VALU_DEP_4)
	v_dual_add_f32 v103, v104, v103 :: v_dual_add_f32 v104, v105, v177
	v_mul_f32_e32 v177, 0xbf4178ce, v192
	v_add_f32_e32 v187, v105, v187
	v_fmamk_f32 v105, v96, 0x3f68dda4, v175
	v_fmac_f32_e32 v175, 0xbf68dda4, v96
	s_delay_alu instid0(VALU_DEP_2) | instskip(NEXT) | instid1(VALU_DEP_1)
	v_dual_add_f32 v105, v105, v184 :: v_dual_fmamk_f32 v184, v194, 0xbf27a4f4, v177
	v_dual_add_f32 v174, v175, v174 :: v_dual_add_f32 v173, v184, v173
	v_fmamk_f32 v184, v194, 0xbf75a155, v188
	v_mul_f32_e32 v193, 0xbe11bafb, v97
	s_delay_alu instid0(VALU_DEP_2) | instskip(SKIP_1) | instid1(VALU_DEP_2)
	v_dual_mul_f32 v183, 0xbf27a4f4, v97 :: v_dual_add_f32 v152, v184, v152
	v_fma_f32 v184, 0xbf75a155, v194, -v188
	v_fmamk_f32 v175, v96, 0x3f4178ce, v183
	v_fmac_f32_e32 v183, 0xbf4178ce, v96
	s_delay_alu instid0(VALU_DEP_3) | instskip(SKIP_1) | instid1(VALU_DEP_1)
	v_add_f32_e32 v181, v184, v181
	v_fmamk_f32 v184, v96, 0xbf7d64f0, v193
	v_dual_fmac_f32 v193, 0x3f7d64f0, v96 :: v_dual_add_f32 v184, v184, v190
	v_fma_f32 v177, 0xbf27a4f4, v194, -v177
	s_delay_alu instid0(VALU_DEP_1) | instskip(SKIP_1) | instid1(VALU_DEP_1)
	v_add_f32_e32 v177, v177, v179
	v_mul_f32_e32 v179, 0x3f7d64f0, v192
	v_fmamk_f32 v188, v194, 0xbe11bafb, v179
	v_fma_f32 v179, 0xbe11bafb, v194, -v179
	s_delay_alu instid0(VALU_DEP_1)
	v_dual_add_f32 v179, v179, v186 :: v_dual_add_f32 v186, v193, v187
	v_sub_f32_e32 v187, v99, v101
	v_add_f32_e32 v99, v101, v99
	v_add_f32_e32 v175, v175, v185
	v_mul_f32_e32 v185, 0xbf75a155, v97
	v_mul_f32_e32 v97, 0x3f575c64, v97
	v_mul_f32_e32 v101, 0xbf7d64f0, v187
	v_add_f32_e32 v151, v183, v151
	v_add_f32_e32 v193, v3, v81
	v_fmamk_f32 v183, v96, 0xbe903f40, v185
	v_fmac_f32_e32 v185, 0x3e903f40, v96
	s_delay_alu instid0(VALU_DEP_2) | instskip(SKIP_3) | instid1(VALU_DEP_3)
	v_dual_add_f32 v180, v183, v180 :: v_dual_add_f32 v183, v188, v189
	v_fmamk_f32 v189, v96, 0xbf0a6770, v97
	v_fmac_f32_e32 v97, 0x3f0a6770, v96
	v_sub_f32_e32 v96, v98, v100
	v_dual_add_f32 v176, v189, v176 :: v_dual_add_f32 v189, v100, v98
	s_delay_alu instid0(VALU_DEP_3) | instskip(SKIP_2) | instid1(VALU_DEP_4)
	v_dual_add_f32 v97, v97, v104 :: v_dual_mul_f32 v104, 0x3e903f40, v187
	v_add_f32_e32 v182, v185, v182
	v_mul_f32_e32 v98, 0xbe11bafb, v99
	v_fmamk_f32 v100, v189, 0xbe11bafb, v101
	v_fma_f32 v101, 0xbe11bafb, v189, -v101
	s_delay_alu instid0(VALU_DEP_2)
	v_add_f32_e32 v100, v100, v102
	v_fmamk_f32 v102, v189, 0xbf75a155, v104
	v_fma_f32 v104, 0xbf75a155, v189, -v104
	v_mul_f32_e32 v185, 0x3f0a6770, v192
	v_dual_add_f32 v101, v101, v178 :: v_dual_mul_f32 v178, 0x3ed4b147, v99
	v_sub_f32_e32 v192, v11, v5
	s_delay_alu instid0(VALU_DEP_3) | instskip(SKIP_3) | instid1(VALU_DEP_4)
	v_fmamk_f32 v188, v194, 0x3f575c64, v185
	v_fma_f32 v185, 0x3f575c64, v194, -v185
	v_add_f32_e32 v102, v102, v173
	v_add_f32_e32 v194, v1, v83
	;; [unrolled: 1-line block ×3, first 2 shown]
	s_delay_alu instid0(VALU_DEP_4) | instskip(SKIP_3) | instid1(VALU_DEP_3)
	v_add_f32_e32 v103, v185, v103
	v_fmamk_f32 v185, v96, 0x3f7d64f0, v98
	v_fmac_f32_e32 v98, 0xbf7d64f0, v96
	v_dual_add_f32 v104, v104, v177 :: v_dual_add_f32 v191, v134, v87
	v_add_f32_e32 v105, v185, v105
	s_delay_alu instid0(VALU_DEP_3) | instskip(NEXT) | instid1(VALU_DEP_1)
	v_dual_mul_f32 v185, 0xbf75a155, v99 :: v_dual_add_f32 v98, v98, v174
	v_fmamk_f32 v174, v96, 0xbe903f40, v185
	s_delay_alu instid0(VALU_DEP_1) | instskip(SKIP_2) | instid1(VALU_DEP_2)
	v_dual_fmac_f32 v185, 0x3e903f40, v96 :: v_dual_add_f32 v174, v174, v175
	v_fmamk_f32 v175, v96, 0xbf68dda4, v178
	v_dual_fmac_f32 v178, 0x3f68dda4, v96 :: v_dual_mul_f32 v173, 0x3f68dda4, v187
	v_dual_add_f32 v175, v175, v180 :: v_dual_mul_f32 v180, 0x3f575c64, v99
	s_delay_alu instid0(VALU_DEP_2) | instskip(NEXT) | instid1(VALU_DEP_3)
	v_add_f32_e32 v178, v178, v182
	v_fmamk_f32 v190, v189, 0x3ed4b147, v173
	v_fma_f32 v173, 0x3ed4b147, v189, -v173
	s_delay_alu instid0(VALU_DEP_4) | instskip(SKIP_1) | instid1(VALU_DEP_4)
	v_fmamk_f32 v182, v96, 0x3f0a6770, v180
	v_fmac_f32_e32 v180, 0xbf0a6770, v96
	v_dual_add_f32 v152, v190, v152 :: v_dual_mul_f32 v99, 0xbf27a4f4, v99
	v_sub_f32_e32 v190, v9, v7
	s_delay_alu instid0(VALU_DEP_4)
	v_add_f32_e32 v182, v182, v184
	v_sub_f32_e32 v184, v89, v95
	v_mul_f32_e32 v177, 0xbf0a6770, v187
	v_add_f32_e32 v89, v95, v89
	v_dual_add_f32 v95, v94, v88 :: v_dual_sub_f32 v88, v88, v94
	v_add_f32_e32 v173, v173, v181
	v_mul_f32_e32 v181, 0xbf4178ce, v187
	s_delay_alu instid0(VALU_DEP_4) | instskip(SKIP_3) | instid1(VALU_DEP_3)
	v_dual_mul_f32 v94, 0xbf27a4f4, v89 :: v_dual_add_f32 v151, v185, v151
	v_fmamk_f32 v185, v189, 0x3f575c64, v177
	v_fma_f32 v177, 0x3f575c64, v189, -v177
	v_sub_f32_e32 v187, v81, v3
	v_add_f32_e32 v183, v185, v183
	v_fmamk_f32 v185, v189, 0xbf27a4f4, v181
	s_delay_alu instid0(VALU_DEP_4)
	v_add_f32_e32 v177, v177, v179
	v_add_f32_e32 v179, v180, v186
	v_fma_f32 v181, 0xbf27a4f4, v189, -v181
	v_mul_f32_e32 v186, 0xbf4178ce, v184
	v_dual_add_f32 v180, v185, v188 :: v_dual_fmamk_f32 v185, v96, 0x3f4178ce, v99
	v_fmac_f32_e32 v99, 0xbf4178ce, v96
	s_delay_alu instid0(VALU_DEP_4) | instskip(NEXT) | instid1(VALU_DEP_3)
	v_add_f32_e32 v103, v181, v103
	v_dual_sub_f32 v189, v83, v1 :: v_dual_add_f32 v96, v185, v176
	s_delay_alu instid0(VALU_DEP_3) | instskip(SKIP_2) | instid1(VALU_DEP_2)
	v_add_f32_e32 v97, v99, v97
	v_fmamk_f32 v99, v88, 0x3f4178ce, v94
	v_fmamk_f32 v176, v95, 0xbf27a4f4, v186
	v_dual_fmac_f32 v94, 0xbf4178ce, v88 :: v_dual_add_f32 v99, v99, v105
	v_mul_f32_e32 v181, 0x3f7d64f0, v184
	s_delay_alu instid0(VALU_DEP_3) | instskip(SKIP_1) | instid1(VALU_DEP_4)
	v_add_f32_e32 v100, v176, v100
	v_fma_f32 v176, 0xbf27a4f4, v95, -v186
	v_dual_add_f32 v94, v94, v98 :: v_dual_mul_f32 v185, 0xbe11bafb, v89
	s_delay_alu instid0(VALU_DEP_4) | instskip(SKIP_1) | instid1(VALU_DEP_4)
	v_fmamk_f32 v105, v95, 0xbe11bafb, v181
	v_mul_f32_e32 v186, 0x3f575c64, v89
	v_add_f32_e32 v101, v176, v101
	v_fma_f32 v176, 0xbe11bafb, v95, -v181
	v_mul_f32_e32 v98, 0xbf0a6770, v184
	v_dual_add_f32 v102, v105, v102 :: v_dual_fmamk_f32 v105, v88, 0xbf7d64f0, v185
	s_delay_alu instid0(VALU_DEP_3) | instskip(SKIP_1) | instid1(VALU_DEP_3)
	v_add_f32_e32 v104, v176, v104
	v_mul_f32_e32 v176, 0xbe903f40, v184
	v_dual_mul_f32 v184, 0x3f68dda4, v184 :: v_dual_add_f32 v105, v105, v174
	v_fmamk_f32 v174, v88, 0x3f0a6770, v186
	v_fmac_f32_e32 v186, 0xbf0a6770, v88
	s_delay_alu instid0(VALU_DEP_2) | instskip(SKIP_1) | instid1(VALU_DEP_1)
	v_dual_add_f32 v174, v174, v175 :: v_dual_fmamk_f32 v175, v95, 0xbf75a155, v176
	v_fma_f32 v176, 0xbf75a155, v95, -v176
	v_dual_add_f32 v176, v176, v177 :: v_dual_fmamk_f32 v181, v95, 0x3f575c64, v98
	v_fma_f32 v98, 0x3f575c64, v95, -v98
	s_delay_alu instid0(VALU_DEP_2) | instskip(NEXT) | instid1(VALU_DEP_2)
	v_dual_add_f32 v152, v181, v152 :: v_dual_mul_f32 v181, 0xbf75a155, v89
	v_add_f32_e32 v98, v98, v173
	s_delay_alu instid0(VALU_DEP_2) | instskip(NEXT) | instid1(VALU_DEP_1)
	v_dual_add_f32 v173, v186, v178 :: v_dual_fmamk_f32 v178, v88, 0x3e903f40, v181
	v_dual_fmac_f32 v181, 0xbe903f40, v88 :: v_dual_add_f32 v178, v178, v182
	v_fmamk_f32 v182, v95, 0x3ed4b147, v184
	v_fma_f32 v95, 0x3ed4b147, v95, -v184
	s_delay_alu instid0(VALU_DEP_2)
	v_add_f32_e32 v180, v182, v180
	v_add_f32_e32 v182, v92, v90
	v_dual_sub_f32 v90, v90, v92 :: v_dual_add_f32 v177, v181, v179
	v_sub_f32_e32 v179, v91, v93
	v_add_f32_e32 v91, v93, v91
	v_mul_f32_e32 v89, 0x3ed4b147, v89
	s_delay_alu instid0(VALU_DEP_3) | instskip(NEXT) | instid1(VALU_DEP_2)
	v_mul_f32_e32 v93, 0xbe903f40, v179
	v_fmamk_f32 v181, v88, 0xbf68dda4, v89
	v_fmac_f32_e32 v89, 0x3f68dda4, v88
	s_delay_alu instid0(VALU_DEP_3) | instskip(SKIP_1) | instid1(VALU_DEP_3)
	v_fmamk_f32 v92, v182, 0xbf75a155, v93
	v_fma_f32 v93, 0xbf75a155, v182, -v93
	v_add_f32_e32 v97, v89, v97
	s_delay_alu instid0(VALU_DEP_3) | instskip(SKIP_1) | instid1(VALU_DEP_4)
	v_dual_add_f32 v197, v92, v100 :: v_dual_mul_f32 v92, 0x3f0a6770, v179
	v_fmac_f32_e32 v185, 0x3f7d64f0, v88
	v_dual_mul_f32 v88, 0xbf75a155, v91 :: v_dual_add_f32 v199, v93, v101
	s_delay_alu instid0(VALU_DEP_1) | instskip(SKIP_1) | instid1(VALU_DEP_2)
	v_fmamk_f32 v89, v90, 0x3e903f40, v88
	v_fmac_f32_e32 v88, 0xbe903f40, v90
	v_add_f32_e32 v198, v89, v99
	v_mul_f32_e32 v89, 0x3f575c64, v91
	v_fmamk_f32 v99, v182, 0x3f575c64, v92
	v_fma_f32 v92, 0x3f575c64, v182, -v92
	v_add_f32_e32 v200, v88, v94
	v_mul_f32_e32 v88, 0xbf4178ce, v179
	v_fmamk_f32 v93, v90, 0xbf0a6770, v89
	v_fmac_f32_e32 v89, 0x3f0a6770, v90
	v_dual_add_f32 v203, v92, v104 :: v_dual_mul_f32 v104, 0x3e903f40, v187
	s_delay_alu instid0(VALU_DEP_4) | instskip(NEXT) | instid1(VALU_DEP_4)
	v_fmamk_f32 v94, v182, 0xbf27a4f4, v88
	v_add_f32_e32 v202, v93, v105
	v_add_f32_e32 v151, v185, v151
	v_mul_f32_e32 v93, 0xbf27a4f4, v91
	v_fma_f32 v88, 0xbf27a4f4, v182, -v88
	v_dual_add_f32 v205, v94, v152 :: v_dual_mul_f32 v94, 0x3ed4b147, v91
	s_delay_alu instid0(VALU_DEP_4) | instskip(NEXT) | instid1(VALU_DEP_4)
	v_add_f32_e32 v204, v89, v151
	v_fmamk_f32 v92, v90, 0x3f4178ce, v93
	v_fmac_f32_e32 v93, 0xbf4178ce, v90
	v_add_f32_e32 v207, v88, v98
	s_delay_alu instid0(VALU_DEP_3) | instskip(NEXT) | instid1(VALU_DEP_3)
	v_dual_mul_f32 v151, 0x3f68dda4, v189 :: v_dual_add_f32 v206, v92, v174
	v_dual_add_f32 v208, v93, v173 :: v_dual_add_f32 v175, v175, v183
	v_fmamk_f32 v92, v90, 0xbf68dda4, v94
	v_mul_f32_e32 v89, 0x3f68dda4, v179
	v_sub_f32_e32 v183, v87, v134
	v_fmac_f32_e32 v94, 0x3f68dda4, v90
	v_mul_f32_e32 v98, 0xbe11bafb, v91
	v_add_f32_e32 v210, v92, v178
	v_fma_f32 v88, 0x3ed4b147, v182, -v89
	v_mul_f32_e32 v174, 0xbf4178ce, v183
	v_mul_f32_e32 v92, 0xbf7d64f0, v179
	v_dual_add_f32 v212, v94, v177 :: v_dual_add_f32 v95, v95, v103
	s_delay_alu instid0(VALU_DEP_4)
	v_dual_add_f32 v211, v88, v176 :: v_dual_add_f32 v88, v133, v86
	v_fmamk_f32 v91, v90, 0x3f7d64f0, v98
	v_fmac_f32_e32 v98, 0xbf7d64f0, v90
	v_add_f32_e32 v90, v2, v80
	v_add_f32_e32 v96, v181, v96
	v_fmamk_f32 v94, v88, 0xbf27a4f4, v174
	v_mul_f32_e32 v176, 0x3f7d64f0, v187
	s_delay_alu instid0(VALU_DEP_3) | instskip(NEXT) | instid1(VALU_DEP_3)
	v_add_f32_e32 v214, v91, v96
	v_add_f32_e32 v94, v84, v94
	v_dual_add_f32 v201, v99, v102 :: v_dual_fmamk_f32 v96, v90, 0xbf75a155, v104
	v_fmamk_f32 v99, v182, 0x3ed4b147, v89
	v_fmamk_f32 v89, v182, 0xbe11bafb, v92
	v_fma_f32 v92, 0xbe11bafb, v182, -v92
	v_fmamk_f32 v102, v90, 0xbe11bafb, v176
	s_delay_alu instid0(VALU_DEP_4) | instskip(NEXT) | instid1(VALU_DEP_4)
	v_dual_mul_f32 v182, 0xbe903f40, v190 :: v_dual_add_f32 v209, v99, v175
	v_dual_add_f32 v213, v89, v180 :: v_dual_mul_f32 v180, 0xbf0a6770, v189
	v_dual_mul_f32 v100, 0xbf7d64f0, v183 :: v_dual_sub_f32 v89, v86, v133
	s_delay_alu instid0(VALU_DEP_4) | instskip(SKIP_1) | instid1(VALU_DEP_3)
	v_add_f32_e32 v102, v102, v94
	v_dual_add_f32 v94, v6, v8 :: v_dual_add_f32 v215, v92, v95
	v_fmamk_f32 v91, v88, 0xbe11bafb, v100
	s_delay_alu instid0(VALU_DEP_2) | instskip(NEXT) | instid1(VALU_DEP_2)
	v_fmamk_f32 v188, v94, 0xbf75a155, v182
	v_add_f32_e32 v92, v84, v91
	v_sub_f32_e32 v91, v80, v2
	s_delay_alu instid0(VALU_DEP_2) | instskip(NEXT) | instid1(VALU_DEP_2)
	v_add_f32_e32 v96, v96, v92
	v_dual_add_f32 v92, v0, v82 :: v_dual_mul_f32 v105, 0x3e903f40, v91
	v_mul_f32_e32 v181, 0x3f7d64f0, v91
	s_delay_alu instid0(VALU_DEP_2) | instskip(SKIP_1) | instid1(VALU_DEP_2)
	v_fmamk_f32 v173, v92, 0x3ed4b147, v151
	v_fmamk_f32 v178, v92, 0x3f575c64, v180
	v_dual_mul_f32 v103, 0xbf7d64f0, v89 :: v_dual_add_f32 v96, v173, v96
	s_delay_alu instid0(VALU_DEP_2) | instskip(NEXT) | instid1(VALU_DEP_2)
	v_add_f32_e32 v102, v178, v102
	v_fma_f32 v93, 0xbe11bafb, v191, -v103
	v_mul_f32_e32 v173, 0xbf0a6770, v190
	s_delay_alu instid0(VALU_DEP_3) | instskip(NEXT) | instid1(VALU_DEP_3)
	v_add_f32_e32 v217, v188, v102
	v_add_f32_e32 v99, v85, v93
	v_sub_f32_e32 v93, v82, v0
	s_delay_alu instid0(VALU_DEP_4) | instskip(SKIP_2) | instid1(VALU_DEP_4)
	v_fmamk_f32 v185, v94, 0x3f575c64, v173
	v_dual_mul_f32 v177, 0xbf4178ce, v89 :: v_dual_sub_f32 v102, v10, v4
	v_fma_f32 v101, 0xbf75a155, v193, -v105
	v_mul_f32_e32 v184, 0xbf0a6770, v93
	s_delay_alu instid0(VALU_DEP_4) | instskip(NEXT) | instid1(VALU_DEP_4)
	v_add_f32_e32 v96, v185, v96
	v_fma_f32 v95, 0xbf27a4f4, v191, -v177
	s_delay_alu instid0(VALU_DEP_4) | instskip(SKIP_2) | instid1(VALU_DEP_4)
	v_dual_mul_f32 v188, 0x3f68dda4, v102 :: v_dual_add_f32 v99, v101, v99
	v_fma_f32 v101, 0xbe11bafb, v193, -v181
	v_fma_f32 v179, 0x3f575c64, v194, -v184
	v_add_f32_e32 v95, v85, v95
	v_mul_f32_e32 v185, 0x3f68dda4, v192
	v_fma_f32 v222, 0x3ed4b147, v195, -v188
	s_delay_alu instid0(VALU_DEP_3) | instskip(NEXT) | instid1(VALU_DEP_1)
	v_add_f32_e32 v101, v101, v95
	v_dual_sub_f32 v95, v8, v6 :: v_dual_add_f32 v216, v179, v101
	s_delay_alu instid0(VALU_DEP_1) | instskip(SKIP_1) | instid1(VALU_DEP_2)
	v_dual_mul_f32 v186, 0xbe903f40, v95 :: v_dual_add_f32 v101, v4, v10
	v_mul_f32_e32 v179, 0xbf4178ce, v102
	v_fma_f32 v218, 0xbf75a155, v196, -v186
	s_delay_alu instid0(VALU_DEP_3) | instskip(NEXT) | instid1(VALU_DEP_3)
	v_fmamk_f32 v221, v101, 0x3ed4b147, v185
	v_fma_f32 v220, 0xbf27a4f4, v195, -v179
	s_delay_alu instid0(VALU_DEP_3) | instskip(SKIP_1) | instid1(VALU_DEP_4)
	v_add_f32_e32 v218, v218, v216
	v_add_f32_e32 v216, v98, v97
	v_add_f32_e32 v98, v221, v217
	v_mul_f32_e32 v152, 0x3f68dda4, v93
	ds_store_2addr_b64 v164, v[106:107], v[197:198] offset1:1
	ds_store_2addr_b64 v164, v[201:202], v[205:206] offset0:2 offset1:3
	ds_store_2addr_b64 v164, v[209:210], v[213:214] offset0:4 offset1:5
	;; [unrolled: 1-line block ×4, first 2 shown]
	ds_store_b64 v164, v[199:200] offset:80
	v_fma_f32 v175, 0x3ed4b147, v194, -v152
	s_delay_alu instid0(VALU_DEP_1) | instskip(SKIP_1) | instid1(VALU_DEP_1)
	v_add_f32_e32 v99, v175, v99
	v_mul_f32_e32 v175, 0xbf0a6770, v95
	v_fma_f32 v178, 0x3f575c64, v196, -v175
	s_delay_alu instid0(VALU_DEP_1) | instskip(NEXT) | instid1(VALU_DEP_1)
	v_dual_add_f32 v99, v178, v99 :: v_dual_mul_f32 v178, 0xbf4178ce, v192
	v_add_f32_e32 v97, v220, v99
	s_delay_alu instid0(VALU_DEP_2) | instskip(NEXT) | instid1(VALU_DEP_1)
	v_fmamk_f32 v219, v101, 0xbf27a4f4, v178
	v_dual_add_f32 v99, v222, v218 :: v_dual_add_f32 v96, v219, v96
	s_and_saveexec_b32 s1, vcc_lo
	s_cbranch_execz .LBB0_17
; %bb.16:
	v_mul_f32_e32 v216, 0xbe903f40, v183
	v_dual_mul_f32 v208, 0xbf75a155, v191 :: v_dual_mul_f32 v211, 0xbf75a155, v94
	v_mul_f32_e32 v212, 0xbf75a155, v196
	v_dual_mul_f32 v220, 0x3f0a6770, v187 :: v_dual_mul_f32 v239, 0x3f0a6770, v192
	s_delay_alu instid0(VALU_DEP_4) | instskip(NEXT) | instid1(VALU_DEP_4)
	v_fmamk_f32 v219, v88, 0xbf75a155, v216
	v_fmamk_f32 v106, v89, 0x3e903f40, v208
	v_mul_f32_e32 v223, 0xbf4178ce, v189
	s_delay_alu instid0(VALU_DEP_4)
	v_fmamk_f32 v222, v90, 0x3f575c64, v220
	v_dual_mul_f32 v164, 0xbe11bafb, v88 :: v_dual_mul_f32 v197, 0xbe11bafb, v191
	v_dual_add_f32 v219, v84, v219 :: v_dual_mul_f32 v198, 0xbf27a4f4, v88
	v_mul_f32_e32 v199, 0xbf27a4f4, v191
	v_dual_mul_f32 v213, 0x3f575c64, v193 :: v_dual_add_f32 v106, v85, v106
	v_mul_f32_e32 v217, 0xbf27a4f4, v194
	v_dual_mul_f32 v226, 0x3ed4b147, v191 :: v_dual_mul_f32 v241, 0x3ed4b147, v193
	v_mul_f32_e32 v225, 0x3f68dda4, v190
	v_mul_f32_e32 v191, 0x3f575c64, v191
	v_dual_add_f32 v219, v222, v219 :: v_dual_fmamk_f32 v222, v92, 0xbf27a4f4, v223
	v_mul_f32_e32 v227, 0x3ed4b147, v195
	v_fmamk_f32 v228, v89, 0x3f68dda4, v226
	v_mul_f32_e32 v229, 0xbf27a4f4, v193
	v_dual_mul_f32 v218, 0x3ed4b147, v101 :: v_dual_mul_f32 v221, 0x3ed4b147, v196
	v_add_f32_e32 v219, v222, v219
	v_fmamk_f32 v222, v94, 0x3ed4b147, v225
	v_fmamk_f32 v107, v91, 0xbf0a6770, v213
	v_mul_f32_e32 v238, 0x3f7d64f0, v190
	v_mul_f32_e32 v234, 0xbe11bafb, v196
	;; [unrolled: 1-line block ×4, first 2 shown]
	v_dual_add_f32 v106, v107, v106 :: v_dual_fmamk_f32 v107, v93, 0x3f4178ce, v217
	s_delay_alu instid0(VALU_DEP_3) | instskip(SKIP_1) | instid1(VALU_DEP_3)
	v_dual_add_f32 v86, v86, v84 :: v_dual_fmamk_f32 v237, v101, 0xbe11bafb, v231
	v_dual_mul_f32 v200, 0xbf75a155, v90 :: v_dual_mul_f32 v201, 0xbf75a155, v193
	v_add_f32_e32 v106, v107, v106
	v_fmamk_f32 v107, v95, 0xbf68dda4, v221
	v_dual_mul_f32 v202, 0xbe11bafb, v90 :: v_dual_mul_f32 v203, 0xbe11bafb, v193
	v_add_f32_e32 v87, v87, v85
	v_mul_f32_e32 v236, 0x3e903f40, v189
	s_delay_alu instid0(VALU_DEP_4) | instskip(SKIP_1) | instid1(VALU_DEP_4)
	v_dual_add_f32 v106, v107, v106 :: v_dual_fmamk_f32 v107, v102, 0x3f7d64f0, v224
	v_dual_mul_f32 v204, 0x3ed4b147, v92 :: v_dual_mul_f32 v205, 0x3ed4b147, v194
	v_dual_add_f32 v81, v81, v87 :: v_dual_mul_f32 v230, 0xbf75a155, v194
	s_delay_alu instid0(VALU_DEP_3) | instskip(SKIP_1) | instid1(VALU_DEP_3)
	v_dual_add_f32 v107, v107, v106 :: v_dual_add_f32 v106, v222, v219
	v_dual_mul_f32 v219, 0xbf68dda4, v183 :: v_dual_add_f32 v222, v85, v228
	v_add_f32_e32 v81, v83, v81
	s_delay_alu instid0(VALU_DEP_3) | instskip(NEXT) | instid1(VALU_DEP_3)
	v_dual_mul_f32 v183, 0xbf0a6770, v183 :: v_dual_add_f32 v106, v237, v106
	v_fmamk_f32 v232, v88, 0x3ed4b147, v219
	v_dual_mul_f32 v87, 0xbf68dda4, v187 :: v_dual_add_f32 v80, v80, v86
	s_delay_alu instid0(VALU_DEP_3) | instskip(SKIP_1) | instid1(VALU_DEP_4)
	v_fmamk_f32 v86, v88, 0x3f575c64, v183
	v_dual_fmamk_f32 v242, v91, 0x3f68dda4, v241 :: v_dual_add_f32 v9, v9, v81
	v_dual_add_f32 v232, v84, v232 :: v_dual_mul_f32 v233, 0xbf4178ce, v187
	v_fmamk_f32 v228, v91, 0x3f4178ce, v229
	v_fmamk_f32 v83, v90, 0x3ed4b147, v87
	v_dual_add_f32 v80, v82, v80 :: v_dual_fmac_f32 v213, 0x3f0a6770, v91
	s_delay_alu instid0(VALU_DEP_3) | instskip(SKIP_2) | instid1(VALU_DEP_3)
	v_dual_fmamk_f32 v235, v90, 0xbf27a4f4, v233 :: v_dual_add_f32 v222, v228, v222
	v_dual_add_f32 v82, v84, v86 :: v_dual_fmac_f32 v217, 0xbf4178ce, v93
	v_fmamk_f32 v240, v89, 0x3f0a6770, v191
	v_dual_add_f32 v232, v235, v232 :: v_dual_fmamk_f32 v235, v92, 0xbf75a155, v236
	s_delay_alu instid0(VALU_DEP_3) | instskip(NEXT) | instid1(VALU_DEP_3)
	v_dual_add_f32 v81, v83, v82 :: v_dual_mul_f32 v206, 0x3f575c64, v92
	v_dual_mul_f32 v207, 0x3f575c64, v194 :: v_dual_add_f32 v240, v85, v240
	s_delay_alu instid0(VALU_DEP_3) | instskip(SKIP_3) | instid1(VALU_DEP_3)
	v_dual_mul_f32 v243, 0xbe11bafb, v194 :: v_dual_add_f32 v232, v235, v232
	v_dual_fmamk_f32 v235, v94, 0xbe11bafb, v238 :: v_dual_add_f32 v8, v8, v80
	v_mul_f32_e32 v80, 0xbf75a155, v195
	v_dual_mul_f32 v209, 0x3f575c64, v94 :: v_dual_mul_f32 v210, 0x3f575c64, v196
	v_dual_add_f32 v232, v235, v232 :: v_dual_fmamk_f32 v235, v101, 0x3f575c64, v239
	v_dual_fmamk_f32 v228, v93, 0xbe903f40, v230 :: v_dual_add_f32 v9, v11, v9
	v_mul_f32_e32 v196, 0xbf27a4f4, v196
	v_dual_add_f32 v8, v10, v8 :: v_dual_fmac_f32 v221, 0x3f68dda4, v95
	s_delay_alu instid0(VALU_DEP_3) | instskip(SKIP_3) | instid1(VALU_DEP_3)
	v_add_f32_e32 v222, v228, v222
	v_fmamk_f32 v228, v95, 0xbf7d64f0, v234
	v_dual_fmamk_f32 v10, v102, 0x3e903f40, v80 :: v_dual_add_f32 v5, v5, v9
	v_dual_add_f32 v9, v181, v203 :: v_dual_mul_f32 v86, 0xbf7d64f0, v189
	v_add_f32_e32 v222, v228, v222
	v_mul_f32_e32 v228, 0x3f575c64, v195
	v_mul_f32_e32 v11, 0xbf4178ce, v190
	s_delay_alu instid0(VALU_DEP_4) | instskip(NEXT) | instid1(VALU_DEP_3)
	v_dual_add_f32 v5, v7, v5 :: v_dual_fmamk_f32 v82, v92, 0xbe11bafb, v86
	v_dual_add_f32 v4, v4, v8 :: v_dual_fmamk_f32 v193, v102, 0xbf0a6770, v228
	s_delay_alu instid0(VALU_DEP_2) | instskip(NEXT) | instid1(VALU_DEP_3)
	v_dual_fmamk_f32 v8, v94, 0xbf27a4f4, v11 :: v_dual_add_f32 v5, v1, v5
	v_dual_add_f32 v81, v82, v81 :: v_dual_mul_f32 v82, 0xbe903f40, v192
	s_delay_alu instid0(VALU_DEP_3) | instskip(SKIP_1) | instid1(VALU_DEP_3)
	v_dual_add_f32 v194, v193, v222 :: v_dual_add_f32 v193, v235, v232
	v_add_f32_e32 v222, v242, v240
	v_dual_fmamk_f32 v232, v93, 0x3f7d64f0, v243 :: v_dual_add_f32 v7, v8, v81
	s_delay_alu instid0(VALU_DEP_4) | instskip(SKIP_1) | instid1(VALU_DEP_3)
	v_dual_fmamk_f32 v8, v101, 0xbf75a155, v82 :: v_dual_add_f32 v3, v3, v5
	v_fma_f32 v5, 0xbf75a155, v88, -v216
	v_add_f32_e32 v222, v232, v222
	v_fmamk_f32 v232, v95, 0x3f4178ce, v196
	v_dual_sub_f32 v81, v211, v182 :: v_dual_add_f32 v4, v6, v4
	v_fmac_f32_e32 v224, 0xbf7d64f0, v102
	v_fmac_f32_e32 v208, 0xbe903f40, v89
	v_add_f32_e32 v83, v103, v197
	v_add_f32_e32 v187, v232, v222
	;; [unrolled: 1-line block ×5, first 2 shown]
	v_fma_f32 v8, 0x3f575c64, v90, -v220
	v_dual_mul_f32 v214, 0xbf27a4f4, v101 :: v_dual_mul_f32 v215, 0xbf27a4f4, v195
	v_add_f32_e32 v2, v2, v4
	v_add_f32_e32 v1, v10, v187
	s_delay_alu instid0(VALU_DEP_4) | instskip(SKIP_3) | instid1(VALU_DEP_3)
	v_add_f32_e32 v7, v8, v7
	v_fma_f32 v8, 0xbf27a4f4, v92, -v223
	v_dual_sub_f32 v10, v202, v176 :: v_dual_fmac_f32 v191, 0xbf0a6770, v89
	v_fma_f32 v11, 0xbf27a4f4, v94, -v11
	v_dual_fmac_f32 v226, 0xbf68dda4, v89 :: v_dual_add_f32 v7, v8, v7
	v_fma_f32 v8, 0x3ed4b147, v94, -v225
	v_dual_add_f32 v6, v85, v208 :: v_dual_fmac_f32 v229, 0xbf4178ce, v91
	v_fmac_f32_e32 v228, 0x3f0a6770, v102
	s_delay_alu instid0(VALU_DEP_3) | instskip(NEXT) | instid1(VALU_DEP_3)
	v_dual_fmac_f32 v230, 0x3e903f40, v93 :: v_dual_add_f32 v7, v8, v7
	v_add_f32_e32 v6, v213, v6
	v_fma_f32 v8, 0xbe11bafb, v101, -v231
	v_fmac_f32_e32 v234, 0x3f7d64f0, v95
	v_fmac_f32_e32 v196, 0xbf4178ce, v95
	;; [unrolled: 1-line block ×3, first 2 shown]
	v_add_f32_e32 v4, v217, v6
	v_add_f32_e32 v6, v177, v199
	v_add_f32_e32 v3, v134, v3
	v_fmac_f32_e32 v241, 0xbf68dda4, v91
	v_fma_f32 v82, 0xbf75a155, v101, -v82
	v_add_f32_e32 v4, v221, v4
	v_dual_add_f32 v6, v85, v6 :: v_dual_fmac_f32 v243, 0xbf7d64f0, v93
	s_delay_alu instid0(VALU_DEP_2) | instskip(NEXT) | instid1(VALU_DEP_2)
	v_dual_add_f32 v5, v224, v4 :: v_dual_sub_f32 v4, v198, v174
	v_dual_add_f32 v6, v9, v6 :: v_dual_add_f32 v9, v184, v207
	s_delay_alu instid0(VALU_DEP_2) | instskip(NEXT) | instid1(VALU_DEP_2)
	v_add_f32_e32 v4, v84, v4
	v_dual_add_f32 v6, v9, v6 :: v_dual_add_f32 v9, v186, v212
	s_delay_alu instid0(VALU_DEP_2) | instskip(SKIP_1) | instid1(VALU_DEP_1)
	v_add_f32_e32 v4, v10, v4
	v_sub_f32_e32 v10, v206, v180
	v_add_f32_e32 v10, v10, v4
	v_add_f32_e32 v4, v8, v7
	v_sub_f32_e32 v8, v164, v100
	v_add_f32_e32 v100, v85, v226
	s_delay_alu instid0(VALU_DEP_1) | instskip(NEXT) | instid1(VALU_DEP_1)
	v_add_f32_e32 v100, v229, v100
	v_add_f32_e32 v100, v230, v100
	v_dual_add_f32 v6, v9, v6 :: v_dual_add_f32 v9, v188, v227
	s_delay_alu instid0(VALU_DEP_1)
	v_add_f32_e32 v7, v9, v6
	v_add_f32_e32 v9, v85, v83
	;; [unrolled: 1-line block ×4, first 2 shown]
	v_dual_add_f32 v10, v105, v201 :: v_dual_sub_f32 v81, v200, v104
	v_dual_add_f32 v2, v133, v2 :: v_dual_sub_f32 v83, v218, v185
	s_delay_alu instid0(VALU_DEP_4) | instskip(NEXT) | instid1(VALU_DEP_3)
	v_dual_add_f32 v85, v241, v85 :: v_dual_add_f32 v8, v84, v8
	v_add_f32_e32 v9, v10, v9
	v_add_f32_e32 v10, v152, v205
	s_delay_alu instid0(VALU_DEP_4) | instskip(NEXT) | instid1(VALU_DEP_4)
	v_add_f32_e32 v6, v83, v6
	v_dual_add_f32 v85, v243, v85 :: v_dual_add_f32 v8, v81, v8
	v_fma_f32 v83, 0x3f575c64, v88, -v183
	s_delay_alu instid0(VALU_DEP_4) | instskip(SKIP_1) | instid1(VALU_DEP_4)
	v_add_f32_e32 v9, v10, v9
	v_sub_f32_e32 v81, v204, v151
	v_dual_add_f32 v85, v196, v85 :: v_dual_add_f32 v10, v175, v210
	s_delay_alu instid0(VALU_DEP_2) | instskip(SKIP_1) | instid1(VALU_DEP_3)
	v_dual_add_f32 v83, v84, v83 :: v_dual_add_f32 v8, v81, v8
	v_sub_f32_e32 v81, v209, v173
	v_dual_add_f32 v9, v10, v9 :: v_dual_add_f32 v10, v179, v215
	s_delay_alu instid0(VALU_DEP_2) | instskip(NEXT) | instid1(VALU_DEP_2)
	v_dual_add_f32 v8, v81, v8 :: v_dual_sub_f32 v81, v214, v178
	v_add_f32_e32 v9, v10, v9
	v_fma_f32 v10, 0x3ed4b147, v88, -v219
	v_fma_f32 v88, 0xbf27a4f4, v90, -v233
	s_delay_alu instid0(VALU_DEP_4) | instskip(NEXT) | instid1(VALU_DEP_3)
	v_add_f32_e32 v8, v81, v8
	v_dual_add_f32 v81, v234, v100 :: v_dual_add_f32 v10, v84, v10
	v_fma_f32 v84, 0x3ed4b147, v90, -v87
	v_fma_f32 v87, 0xbf75a155, v92, -v236
	s_delay_alu instid0(VALU_DEP_3) | instskip(NEXT) | instid1(VALU_DEP_3)
	v_add_f32_e32 v10, v88, v10
	v_add_f32_e32 v83, v84, v83
	v_fma_f32 v84, 0xbe11bafb, v92, -v86
	v_fma_f32 v86, 0xbe11bafb, v94, -v238
	s_delay_alu instid0(VALU_DEP_2) | instskip(SKIP_1) | instid1(VALU_DEP_2)
	v_dual_add_f32 v10, v87, v10 :: v_dual_add_f32 v83, v84, v83
	v_fma_f32 v84, 0x3f575c64, v101, -v239
	v_add_f32_e32 v10, v86, v10
	v_lshlrev_b32_e32 v86, 3, v155
	s_delay_alu instid0(VALU_DEP_4) | instskip(SKIP_3) | instid1(VALU_DEP_4)
	v_add_f32_e32 v83, v11, v83
	v_add_f32_e32 v11, v228, v81
	v_add_f32_e32 v81, v80, v85
	v_add_f32_e32 v10, v84, v10
	v_add_f32_e32 v80, v82, v83
	ds_store_2addr_b64 v86, v[2:3], v[0:1] offset1:1
	ds_store_2addr_b64 v86, v[193:194], v[96:97] offset0:2 offset1:3
	ds_store_2addr_b64 v86, v[98:99], v[106:107] offset0:4 offset1:5
	;; [unrolled: 1-line block ×4, first 2 shown]
	ds_store_b64 v86, v[80:81] offset:80
.LBB0_17:
	s_wait_alu 0xfffe
	s_or_b32 exec_lo, exec_lo, s1
	v_add_nc_u32_e32 v8, 0x1c00, v153
	v_add_nc_u32_e32 v0, 0x1400, v153
	;; [unrolled: 1-line block ×6, first 2 shown]
	global_wb scope:SCOPE_SE
	s_wait_dscnt 0x0
	s_barrier_signal -1
	s_barrier_wait -1
	global_inv scope:SCOPE_SE
	ds_load_2addr_b64 v[4:7], v153 offset1:110
	ds_load_2addr_b64 v[0:3], v0 offset0:20 offset1:185
	ds_load_2addr_b64 v[92:95], v8 offset0:39 offset1:149
	;; [unrolled: 1-line block ×6, first 2 shown]
	s_and_saveexec_b32 s1, s0
	s_cbranch_execz .LBB0_19
; %bb.18:
	ds_load_b64 v[96:97], v153 offset:6160
	ds_load_b64 v[98:99], v153 offset:12760
.LBB0_19:
	s_wait_alu 0xfffe
	s_or_b32 exec_lo, exec_lo, s1
	s_wait_dscnt 0x4
	v_dual_mul_f32 v100, v150, v3 :: v_dual_mul_f32 v103, v148, v92
	v_dual_mul_f32 v101, v150, v2 :: v_dual_mul_f32 v102, v148, v93
	global_wb scope:SCOPE_SE
	s_wait_dscnt 0x0
	v_fmac_f32_e32 v100, v149, v2
	v_fma_f32 v93, v147, v93, -v103
	v_fma_f32 v3, v149, v3, -v101
	v_dual_mul_f32 v101, v144, v89 :: v_dual_fmac_f32 v102, v147, v92
	v_dual_mul_f32 v92, v146, v95 :: v_dual_mul_f32 v103, v144, v88
	s_delay_alu instid0(VALU_DEP_2) | instskip(SKIP_1) | instid1(VALU_DEP_3)
	v_dual_mul_f32 v2, v146, v94 :: v_dual_fmac_f32 v101, v143, v88
	v_mul_f32_e32 v104, v138, v87
	v_fmac_f32_e32 v92, v145, v94
	s_delay_alu instid0(VALU_DEP_4) | instskip(SKIP_3) | instid1(VALU_DEP_3)
	v_fma_f32 v89, v143, v89, -v103
	v_mul_f32_e32 v103, v142, v85
	v_fma_f32 v94, v145, v95, -v2
	v_dual_mul_f32 v95, v140, v91 :: v_dual_mul_f32 v88, v142, v84
	v_dual_mul_f32 v2, v140, v90 :: v_dual_fmac_f32 v103, v141, v84
	v_dual_sub_f32 v3, v5, v3 :: v_dual_sub_f32 v84, v6, v102
	s_delay_alu instid0(VALU_DEP_3) | instskip(NEXT) | instid1(VALU_DEP_4)
	v_fmac_f32_e32 v95, v139, v90
	v_fma_f32 v105, v141, v85, -v88
	v_mul_f32_e32 v85, v138, v86
	v_fma_f32 v91, v139, v91, -v2
	v_sub_f32_e32 v2, v4, v100
	v_sub_f32_e32 v88, v82, v101
	;; [unrolled: 1-line block ×3, first 2 shown]
	v_fma_f32 v100, v137, v87, -v85
	v_sub_f32_e32 v91, v9, v91
	v_dual_sub_f32 v85, v7, v93 :: v_dual_fmac_f32 v104, v137, v86
	v_dual_sub_f32 v86, v80, v92 :: v_dual_sub_f32 v87, v81, v94
	v_dual_sub_f32 v90, v8, v95 :: v_dual_sub_f32 v93, v11, v105
	v_fma_f32 v4, v4, 2.0, -v2
	v_fma_f32 v5, v5, 2.0, -v3
	v_dual_sub_f32 v92, v10, v103 :: v_dual_sub_f32 v95, v1, v100
	v_sub_f32_e32 v94, v0, v104
	v_fma_f32 v6, v6, 2.0, -v84
	v_fma_f32 v7, v7, 2.0, -v85
	v_fma_f32 v80, v80, 2.0, -v86
	v_fma_f32 v81, v81, 2.0, -v87
	v_fma_f32 v82, v82, 2.0, -v88
	v_fma_f32 v83, v83, 2.0, -v89
	v_fma_f32 v8, v8, 2.0, -v90
	v_fma_f32 v9, v9, 2.0, -v91
	v_fma_f32 v10, v10, 2.0, -v92
	v_fma_f32 v11, v11, 2.0, -v93
	v_fma_f32 v0, v0, 2.0, -v94
	v_fma_f32 v1, v1, 2.0, -v95
	s_barrier_signal -1
	s_barrier_wait -1
	global_inv scope:SCOPE_SE
	ds_store_2addr_b64 v163, v[4:5], v[2:3] offset1:11
	ds_store_2addr_b64 v162, v[6:7], v[84:85] offset1:11
	;; [unrolled: 1-line block ×7, first 2 shown]
	s_and_saveexec_b32 s1, s0
	s_cbranch_execz .LBB0_21
; %bb.20:
	v_mul_f32_e32 v0, v136, v98
	v_and_b32_e32 v4, 0xffff, v156
	s_delay_alu instid0(VALU_DEP_2) | instskip(SKIP_1) | instid1(VALU_DEP_3)
	v_fma_f32 v0, v135, v99, -v0
	v_mul_f32_e32 v2, v136, v99
	v_lshlrev_b32_e32 v4, 3, v4
	s_delay_alu instid0(VALU_DEP_2) | instskip(NEXT) | instid1(VALU_DEP_1)
	v_dual_sub_f32 v1, v97, v0 :: v_dual_fmac_f32 v2, v135, v98
	v_fma_f32 v3, v97, 2.0, -v1
	s_delay_alu instid0(VALU_DEP_2) | instskip(NEXT) | instid1(VALU_DEP_1)
	v_sub_f32_e32 v0, v96, v2
	v_fma_f32 v2, v96, 2.0, -v0
	ds_store_2addr_b64 v4, v[2:3], v[0:1] offset1:11
.LBB0_21:
	s_wait_alu 0xfffe
	s_or_b32 exec_lo, exec_lo, s1
	v_add_nc_u32_e32 v4, 0xc00, v153
	v_add_nc_u32_e32 v0, 0x2000, v153
	;; [unrolled: 1-line block ×3, first 2 shown]
	global_wb scope:SCOPE_SE
	s_wait_dscnt 0x0
	s_barrier_signal -1
	s_barrier_wait -1
	global_inv scope:SCOPE_SE
	ds_load_2addr_b64 v[6:9], v4 offset0:56 offset1:166
	ds_load_2addr_b64 v[80:83], v0 offset0:76 offset1:186
	;; [unrolled: 1-line block ×3, first 2 shown]
	v_add_nc_u32_e32 v2, 0x2800, v153
	v_add_nc_u32_e32 v5, 0x1800, v153
	s_mov_b32 s2, 0x3dc013dc
	s_mov_b32 s3, 0x3f43dc01
	s_wait_dscnt 0x1
	v_dual_mul_f32 v104, v29, v9 :: v_dual_mul_f32 v107, v27, v83
	s_wait_dscnt 0x0
	v_dual_mul_f32 v106, v25, v85 :: v_dual_mul_f32 v27, v27, v82
	v_add_nc_u32_e32 v1, 0x400, v153
	v_mul_f32_e32 v29, v29, v8
	v_mul_f32_e32 v25, v25, v84
	s_delay_alu instid0(VALU_DEP_4)
	v_fmac_f32_e32 v106, v24, v84
	v_fmac_f32_e32 v104, v28, v8
	v_mul_f32_e32 v8, v21, v86
	ds_load_2addr_b64 v[88:91], v153 offset1:110
	ds_load_b64 v[10:11], v153 offset:12320
	ds_load_2addr_b64 v[92:95], v1 offset0:92 offset1:202
	ds_load_2addr_b64 v[96:99], v2 offset0:40 offset1:150
	;; [unrolled: 1-line block ×3, first 2 shown]
	v_fma_f32 v9, v28, v9, -v29
	v_fma_f32 v24, v24, v85, -v25
	v_mul_f32_e32 v25, v21, v87
	v_fmac_f32_e32 v107, v26, v82
	v_fma_f32 v21, v26, v83, -v27
	v_fma_f32 v27, v20, v87, -v8
	global_wb scope:SCOPE_SE
	s_wait_dscnt 0x0
	s_barrier_signal -1
	s_barrier_wait -1
	global_inv scope:SCOPE_SE
	v_mul_f32_e32 v82, v15, v11
	v_mul_f32_e32 v26, v23, v97
	v_dual_mul_f32 v8, v17, v100 :: v_dual_mul_f32 v105, v31, v81
	v_mul_f32_e32 v31, v31, v80
	s_delay_alu instid0(VALU_DEP_3) | instskip(SKIP_1) | instid1(VALU_DEP_4)
	v_dual_mul_f32 v29, v17, v101 :: v_dual_fmac_f32 v26, v22, v96
	v_fmac_f32_e32 v25, v20, v86
	v_fmac_f32_e32 v105, v30, v80
	s_delay_alu instid0(VALU_DEP_4) | instskip(NEXT) | instid1(VALU_DEP_4)
	v_fma_f32 v28, v30, v81, -v31
	v_dual_mul_f32 v30, v19, v99 :: v_dual_fmac_f32 v29, v16, v100
	v_fma_f32 v31, v16, v101, -v8
	v_mul_f32_e32 v8, v13, v102
	v_dual_mul_f32 v17, v19, v98 :: v_dual_mul_f32 v80, v13, v103
	v_mul_f32_e32 v13, v15, v10
	v_fmac_f32_e32 v82, v14, v10
	s_delay_alu instid0(VALU_DEP_4)
	v_fma_f32 v83, v12, v103, -v8
	v_add_f32_e32 v8, v104, v105
	v_fmac_f32_e32 v80, v12, v102
	v_add_f32_e32 v10, v88, v104
	v_fma_f32 v84, v14, v11, -v13
	v_add_f32_e32 v11, v9, v28
	v_fma_f32 v8, -0.5, v8, v88
	v_sub_f32_e32 v13, v9, v28
	v_sub_f32_e32 v15, v104, v105
	v_dual_mul_f32 v23, v23, v96 :: v_dual_fmac_f32 v30, v18, v98
	v_fma_f32 v81, v18, v99, -v17
	s_delay_alu instid0(VALU_DEP_4)
	v_fmamk_f32 v12, v13, 0xbf5db3d7, v8
	v_add_f32_e32 v14, v89, v9
	v_fma_f32 v9, -0.5, v11, v89
	v_add_f32_e32 v10, v10, v105
	v_fmac_f32_e32 v8, 0x3f5db3d7, v13
	v_dual_add_f32 v16, v90, v106 :: v_dual_sub_f32 v17, v24, v21
	s_delay_alu instid0(VALU_DEP_4)
	v_fmamk_f32 v13, v15, 0x3f5db3d7, v9
	v_fmac_f32_e32 v9, 0xbf5db3d7, v15
	v_add_f32_e32 v11, v14, v28
	v_dual_add_f32 v14, v106, v107 :: v_dual_add_f32 v15, v24, v21
	v_add_f32_e32 v18, v91, v24
	v_fma_f32 v23, v22, v97, -v23
	v_add_f32_e32 v20, v92, v25
	s_delay_alu instid0(VALU_DEP_4) | instskip(SKIP_2) | instid1(VALU_DEP_3)
	v_fma_f32 v90, -0.5, v14, v90
	v_fmac_f32_e32 v91, -0.5, v15
	v_dual_add_f32 v14, v16, v107 :: v_dual_add_f32 v15, v18, v21
	v_dual_sub_f32 v19, v106, v107 :: v_dual_fmamk_f32 v16, v17, 0xbf5db3d7, v90
	v_add_f32_e32 v18, v25, v26
	s_delay_alu instid0(VALU_DEP_2) | instskip(SKIP_2) | instid1(VALU_DEP_4)
	v_dual_fmac_f32 v90, 0x3f5db3d7, v17 :: v_dual_fmamk_f32 v17, v19, 0x3f5db3d7, v91
	v_fmac_f32_e32 v91, 0xbf5db3d7, v19
	v_add_f32_e32 v19, v27, v23
	v_fma_f32 v18, -0.5, v18, v92
	v_dual_sub_f32 v21, v27, v23 :: v_dual_add_f32 v20, v20, v26
	v_sub_f32_e32 v25, v25, v26
	s_delay_alu instid0(VALU_DEP_4) | instskip(SKIP_1) | instid1(VALU_DEP_4)
	v_fma_f32 v19, -0.5, v19, v93
	v_add_f32_e32 v26, v94, v29
	v_fmamk_f32 v22, v21, 0xbf5db3d7, v18
	v_fmac_f32_e32 v18, 0x3f5db3d7, v21
	v_dual_add_f32 v24, v93, v27 :: v_dual_sub_f32 v27, v31, v81
	s_delay_alu instid0(VALU_DEP_1)
	v_dual_add_f32 v21, v24, v23 :: v_dual_add_f32 v24, v29, v30
	v_fmamk_f32 v23, v25, 0x3f5db3d7, v19
	v_fmac_f32_e32 v19, 0xbf5db3d7, v25
	v_add_f32_e32 v25, v31, v81
	v_add_f32_e32 v28, v95, v31
	v_fma_f32 v94, -0.5, v24, v94
	v_sub_f32_e32 v29, v29, v30
	s_delay_alu instid0(VALU_DEP_4) | instskip(NEXT) | instid1(VALU_DEP_3)
	v_dual_add_f32 v24, v26, v30 :: v_dual_fmac_f32 v95, -0.5, v25
	v_dual_add_f32 v25, v28, v81 :: v_dual_fmamk_f32 v26, v27, 0xbf5db3d7, v94
	v_fmac_f32_e32 v94, 0x3f5db3d7, v27
	s_delay_alu instid0(VALU_DEP_3) | instskip(SKIP_2) | instid1(VALU_DEP_3)
	v_dual_add_f32 v28, v80, v82 :: v_dual_fmamk_f32 v27, v29, 0x3f5db3d7, v95
	v_dual_fmac_f32 v95, 0xbf5db3d7, v29 :: v_dual_add_f32 v30, v6, v80
	v_dual_add_f32 v29, v83, v84 :: v_dual_sub_f32 v80, v80, v82
	v_fma_f32 v6, -0.5, v28, v6
	s_delay_alu instid0(VALU_DEP_3) | instskip(SKIP_1) | instid1(VALU_DEP_2)
	v_dual_sub_f32 v31, v83, v84 :: v_dual_add_f32 v28, v30, v82
	v_add_f32_e32 v81, v7, v83
	v_dual_fmac_f32 v7, -0.5, v29 :: v_dual_fmamk_f32 v30, v31, 0xbf5db3d7, v6
	s_delay_alu instid0(VALU_DEP_2) | instskip(NEXT) | instid1(VALU_DEP_2)
	v_dual_fmac_f32 v6, 0x3f5db3d7, v31 :: v_dual_add_f32 v29, v81, v84
	v_fmamk_f32 v31, v80, 0x3f5db3d7, v7
	v_fmac_f32_e32 v7, 0xbf5db3d7, v80
	ds_store_2addr_b64 v172, v[10:11], v[12:13] offset1:22
	ds_store_b64 v172, v[8:9] offset:352
	ds_store_2addr_b64 v171, v[14:15], v[16:17] offset1:22
	ds_store_b64 v171, v[90:91] offset:352
	;; [unrolled: 2-line block ×5, first 2 shown]
	global_wb scope:SCOPE_SE
	s_wait_dscnt 0x0
	s_barrier_signal -1
	s_barrier_wait -1
	global_inv scope:SCOPE_SE
	ds_load_2addr_b64 v[6:9], v1 offset0:92 offset1:202
	ds_load_2addr_b64 v[10:13], v3 offset0:20 offset1:130
	;; [unrolled: 1-line block ×5, first 2 shown]
	ds_load_2addr_b64 v[26:29], v153 offset1:110
	ds_load_2addr_b64 v[80:83], v0 offset0:76 offset1:186
	ds_load_b64 v[30:31], v153 offset:12320
	global_wb scope:SCOPE_SE
	s_wait_dscnt 0x0
	s_barrier_signal -1
	s_barrier_wait -1
	global_inv scope:SCOPE_SE
	v_dual_mul_f32 v84, v53, v9 :: v_dual_mul_f32 v85, v55, v11
	v_mul_f32_e32 v53, v53, v8
	v_dual_mul_f32 v86, v49, v17 :: v_dual_mul_f32 v55, v55, v10
	s_delay_alu instid0(VALU_DEP_3) | instskip(SKIP_4) | instid1(VALU_DEP_4)
	v_dual_fmac_f32 v84, v52, v8 :: v_dual_fmac_f32 v85, v54, v10
	v_mul_f32_e32 v8, v49, v16
	v_mul_f32_e32 v49, v45, v23
	;; [unrolled: 1-line block ×3, first 2 shown]
	v_fmac_f32_e32 v86, v48, v16
	v_fma_f32 v45, v48, v17, -v8
	s_delay_alu instid0(VALU_DEP_4) | instskip(NEXT) | instid1(VALU_DEP_4)
	v_dual_mul_f32 v8, v47, v12 :: v_dual_fmac_f32 v49, v44, v22
	v_fma_f32 v44, v44, v23, -v10
	v_mul_f32_e32 v10, v43, v14
	v_fma_f32 v52, v52, v9, -v53
	v_fma_f32 v53, v54, v11, -v55
	v_mul_f32_e32 v11, v51, v19
	v_mul_f32_e32 v9, v51, v18
	;; [unrolled: 1-line block ×3, first 2 shown]
	s_delay_alu instid0(VALU_DEP_3) | instskip(SKIP_1) | instid1(VALU_DEP_4)
	v_fmac_f32_e32 v11, v50, v18
	v_mul_f32_e32 v23, v47, v13
	v_fma_f32 v18, v50, v19, -v9
	v_mul_f32_e32 v9, v37, v80
	v_fma_f32 v50, v34, v31, -v17
	s_delay_alu instid0(VALU_DEP_4)
	v_fmac_f32_e32 v23, v46, v12
	v_fma_f32 v46, v46, v13, -v8
	v_dual_mul_f32 v8, v39, v20 :: v_dual_mul_f32 v47, v37, v81
	v_mul_f32_e32 v37, v39, v21
	v_mul_f32_e32 v39, v41, v25
	v_dual_sub_f32 v13, v52, v18 :: v_dual_sub_f32 v22, v18, v45
	s_delay_alu instid0(VALU_DEP_3) | instskip(SKIP_4) | instid1(VALU_DEP_3)
	v_dual_sub_f32 v12, v84, v85 :: v_dual_fmac_f32 v37, v38, v20
	v_fma_f32 v38, v38, v21, -v8
	v_add_f32_e32 v8, v85, v86
	v_dual_add_f32 v16, v84, v11 :: v_dual_add_f32 v21, v53, v45
	v_dual_sub_f32 v17, v86, v11 :: v_dual_add_f32 v20, v27, v52
	v_fma_f32 v8, -0.5, v8, v26
	v_fmac_f32_e32 v47, v36, v80
	v_fma_f32 v36, v36, v81, -v9
	v_mul_f32_e32 v9, v41, v24
	v_mul_f32_e32 v41, v43, v15
	s_delay_alu instid0(VALU_DEP_1) | instskip(SKIP_3) | instid1(VALU_DEP_3)
	v_fmac_f32_e32 v41, v42, v14
	v_sub_f32_e32 v14, v11, v86
	v_fma_f32 v42, v42, v15, -v10
	v_dual_sub_f32 v15, v53, v45 :: v_dual_add_f32 v10, v26, v84
	v_add_f32_e32 v19, v12, v14
	v_fma_f32 v12, -0.5, v16, v26
	v_sub_f32_e32 v26, v44, v38
	s_delay_alu instid0(VALU_DEP_2) | instskip(SKIP_1) | instid1(VALU_DEP_2)
	v_dual_fmamk_f32 v16, v15, 0x3f737871, v12 :: v_dual_fmac_f32 v39, v40, v24
	v_fma_f32 v40, v40, v25, -v9
	v_dual_mul_f32 v9, v33, v82 :: v_dual_fmac_f32 v16, 0xbf167918, v13
	s_delay_alu instid0(VALU_DEP_1) | instskip(SKIP_3) | instid1(VALU_DEP_3)
	v_fma_f32 v48, v32, v83, -v9
	v_dual_add_f32 v9, v10, v85 :: v_dual_fmamk_f32 v10, v13, 0xbf737871, v8
	v_fmac_f32_e32 v8, 0x3f737871, v13
	v_add_f32_e32 v25, v28, v49
	v_add_f32_e32 v9, v9, v86
	s_delay_alu instid0(VALU_DEP_1) | instskip(SKIP_3) | instid1(VALU_DEP_3)
	v_add_f32_e32 v14, v9, v11
	v_dual_sub_f32 v9, v85, v84 :: v_dual_add_f32 v24, v23, v47
	v_fmac_f32_e32 v10, 0xbf167918, v15
	v_fmac_f32_e32 v8, 0x3f167918, v15
	v_dual_fmac_f32 v12, 0xbf737871, v15 :: v_dual_add_f32 v17, v9, v17
	v_mul_f32_e32 v43, v33, v83
	v_mul_f32_e32 v33, v35, v31
	v_add_f32_e32 v15, v20, v53
	s_delay_alu instid0(VALU_DEP_4)
	v_fmac_f32_e32 v12, 0x3f167918, v13
	v_sub_f32_e32 v20, v52, v53
	v_add_f32_e32 v13, v52, v18
	v_fmac_f32_e32 v33, v34, v30
	v_add_f32_e32 v15, v15, v45
	v_fma_f32 v9, -0.5, v21, v27
	v_add_f32_e32 v20, v20, v22
	v_sub_f32_e32 v22, v53, v52
	v_fma_f32 v13, -0.5, v13, v27
	v_add_f32_e32 v15, v15, v18
	v_sub_f32_e32 v18, v45, v18
	v_sub_f32_e32 v35, v40, v50
	v_add_f32_e32 v31, v46, v36
	v_sub_f32_e32 v34, v38, v36
	s_delay_alu instid0(VALU_DEP_4)
	v_add_f32_e32 v22, v22, v18
	v_fma_f32 v18, -0.5, v24, v28
	v_sub_f32_e32 v24, v49, v23
	v_fmac_f32_e32 v10, 0x3e9e377a, v19
	v_dual_sub_f32 v21, v84, v11 :: v_dual_add_f32 v30, v49, v37
	v_dual_fmac_f32 v8, 0x3e9e377a, v19 :: v_dual_sub_f32 v19, v85, v86
	v_sub_f32_e32 v27, v37, v47
	s_delay_alu instid0(VALU_DEP_3) | instskip(SKIP_2) | instid1(VALU_DEP_3)
	v_fmamk_f32 v11, v21, 0x3f737871, v9
	v_fmac_f32_e32 v9, 0xbf737871, v21
	v_fma_f32 v28, -0.5, v30, v28
	v_dual_add_f32 v30, v29, v44 :: v_dual_fmac_f32 v11, 0x3f167918, v19
	s_delay_alu instid0(VALU_DEP_3) | instskip(NEXT) | instid1(VALU_DEP_2)
	v_fmac_f32_e32 v9, 0xbf167918, v19
	v_fmac_f32_e32 v11, 0x3e9e377a, v20
	s_delay_alu instid0(VALU_DEP_2)
	v_fmac_f32_e32 v9, 0x3e9e377a, v20
	v_fmamk_f32 v20, v26, 0xbf737871, v18
	v_fmac_f32_e32 v18, 0x3f737871, v26
	v_dual_fmac_f32 v16, 0x3e9e377a, v17 :: v_dual_fmac_f32 v43, v32, v82
	v_fmac_f32_e32 v12, 0x3e9e377a, v17
	v_fmamk_f32 v17, v19, 0xbf737871, v13
	v_fmac_f32_e32 v13, 0x3f737871, v19
	v_add_f32_e32 v19, v25, v23
	v_dual_sub_f32 v25, v46, v36 :: v_dual_sub_f32 v32, v44, v46
	s_delay_alu instid0(VALU_DEP_4) | instskip(NEXT) | instid1(VALU_DEP_4)
	v_fmac_f32_e32 v17, 0x3f167918, v21
	v_fmac_f32_e32 v13, 0xbf167918, v21
	s_delay_alu instid0(VALU_DEP_4) | instskip(NEXT) | instid1(VALU_DEP_4)
	v_add_f32_e32 v19, v19, v47
	v_dual_add_f32 v21, v24, v27 :: v_dual_fmamk_f32 v24, v25, 0x3f737871, v28
	v_fmac_f32_e32 v28, 0xbf737871, v25
	s_delay_alu instid0(VALU_DEP_4) | instskip(NEXT) | instid1(VALU_DEP_3)
	v_fmac_f32_e32 v13, 0x3e9e377a, v22
	v_dual_sub_f32 v27, v47, v37 :: v_dual_fmac_f32 v24, 0xbf167918, v26
	s_delay_alu instid0(VALU_DEP_3) | instskip(SKIP_2) | instid1(VALU_DEP_1)
	v_fmac_f32_e32 v28, 0x3f167918, v26
	v_dual_fmac_f32 v17, 0x3e9e377a, v22 :: v_dual_add_f32 v22, v19, v37
	v_dual_sub_f32 v19, v23, v49 :: v_dual_add_f32 v26, v44, v38
	v_add_f32_e32 v27, v19, v27
	v_fma_f32 v19, -0.5, v31, v29
	s_delay_alu instid0(VALU_DEP_3) | instskip(NEXT) | instid1(VALU_DEP_3)
	v_dual_fmac_f32 v29, -0.5, v26 :: v_dual_sub_f32 v26, v46, v44
	v_fmac_f32_e32 v24, 0x3e9e377a, v27
	v_fmac_f32_e32 v28, 0x3e9e377a, v27
	;; [unrolled: 1-line block ×3, first 2 shown]
	v_dual_fmac_f32 v18, 0x3f167918, v25 :: v_dual_add_f32 v25, v30, v46
	v_add_f32_e32 v27, v32, v34
	v_sub_f32_e32 v32, v36, v38
	v_add_f32_e32 v34, v41, v43
	v_sub_f32_e32 v30, v49, v37
	;; [unrolled: 2-line block ×3, first 2 shown]
	v_add_f32_e32 v32, v26, v32
	v_fma_f32 v26, -0.5, v34, v6
	v_sub_f32_e32 v34, v39, v41
	v_fmac_f32_e32 v20, 0x3e9e377a, v21
	v_fmac_f32_e32 v18, 0x3e9e377a, v21
	v_fmamk_f32 v21, v30, 0x3f737871, v19
	v_fmac_f32_e32 v19, 0xbf737871, v30
	v_dual_add_f32 v37, v39, v33 :: v_dual_add_f32 v34, v34, v36
	v_sub_f32_e32 v31, v23, v47
	v_add_f32_e32 v23, v25, v38
	v_sub_f32_e32 v36, v41, v39
	v_sub_f32_e32 v38, v41, v43
	s_delay_alu instid0(VALU_DEP_4)
	v_fmac_f32_e32 v21, 0x3f167918, v31
	v_fmamk_f32 v25, v31, 0xbf737871, v29
	v_fmac_f32_e32 v19, 0xbf167918, v31
	v_fmac_f32_e32 v29, 0x3f737871, v31
	v_add_f32_e32 v31, v6, v39
	v_fma_f32 v6, -0.5, v37, v6
	v_sub_f32_e32 v37, v43, v33
	v_fmac_f32_e32 v25, 0x3f167918, v30
	v_fmac_f32_e32 v19, 0x3e9e377a, v27
	;; [unrolled: 1-line block ×3, first 2 shown]
	v_fmamk_f32 v30, v35, 0xbf737871, v26
	v_fmac_f32_e32 v26, 0x3f737871, v35
	v_dual_add_f32 v36, v36, v37 :: v_dual_fmac_f32 v21, 0x3e9e377a, v27
	v_add_f32_e32 v27, v31, v41
	v_sub_f32_e32 v31, v42, v48
	v_fmac_f32_e32 v29, 0x3e9e377a, v32
	v_add_f32_e32 v37, v40, v50
	v_sub_f32_e32 v41, v48, v50
	v_add_f32_e32 v27, v27, v43
	v_fmac_f32_e32 v30, 0xbf167918, v31
	v_fmac_f32_e32 v26, 0x3f167918, v31
	s_delay_alu instid0(VALU_DEP_2) | instskip(NEXT) | instid1(VALU_DEP_2)
	v_fmac_f32_e32 v30, 0x3e9e377a, v34
	v_fmac_f32_e32 v26, 0x3e9e377a, v34
	v_fmamk_f32 v34, v31, 0x3f737871, v6
	v_dual_fmac_f32 v6, 0xbf737871, v31 :: v_dual_add_f32 v31, v7, v40
	s_delay_alu instid0(VALU_DEP_2) | instskip(NEXT) | instid1(VALU_DEP_2)
	v_fmac_f32_e32 v34, 0xbf167918, v35
	v_fmac_f32_e32 v6, 0x3f167918, v35
	v_dual_fmac_f32 v25, 0x3e9e377a, v32 :: v_dual_add_f32 v32, v27, v33
	v_add_f32_e32 v27, v42, v48
	v_sub_f32_e32 v33, v39, v33
	v_dual_add_f32 v35, v31, v42 :: v_dual_fmac_f32 v34, 0x3e9e377a, v36
	v_fmac_f32_e32 v6, 0x3e9e377a, v36
	s_delay_alu instid0(VALU_DEP_4) | instskip(NEXT) | instid1(VALU_DEP_3)
	v_fma_f32 v27, -0.5, v27, v7
	v_dual_fmac_f32 v7, -0.5, v37 :: v_dual_add_f32 v36, v35, v48
	v_sub_f32_e32 v37, v40, v42
	v_sub_f32_e32 v39, v50, v48
	s_delay_alu instid0(VALU_DEP_4) | instskip(SKIP_3) | instid1(VALU_DEP_4)
	v_fmamk_f32 v31, v33, 0x3f737871, v27
	v_fmac_f32_e32 v27, 0xbf737871, v33
	v_fmamk_f32 v35, v38, 0xbf737871, v7
	v_dual_sub_f32 v40, v42, v40 :: v_dual_fmac_f32 v7, 0x3f737871, v38
	v_fmac_f32_e32 v31, 0x3f167918, v38
	v_add_f32_e32 v37, v37, v39
	v_fmac_f32_e32 v27, 0xbf167918, v38
	v_fmac_f32_e32 v35, 0x3f167918, v33
	v_add_f32_e32 v38, v40, v41
	v_fmac_f32_e32 v7, 0xbf167918, v33
	v_add_f32_e32 v33, v36, v50
	v_fmac_f32_e32 v31, 0x3e9e377a, v37
	v_fmac_f32_e32 v27, 0x3e9e377a, v37
	;; [unrolled: 1-line block ×4, first 2 shown]
	ds_store_2addr_b64 v170, v[14:15], v[10:11] offset1:66
	ds_store_2addr_b64 v170, v[16:17], v[12:13] offset0:132 offset1:198
	ds_store_b64 v170, v[8:9] offset:2112
	ds_store_2addr_b64 v168, v[22:23], v[20:21] offset1:66
	ds_store_2addr_b64 v168, v[24:25], v[28:29] offset0:132 offset1:198
	ds_store_b64 v168, v[18:19] offset:2112
	;; [unrolled: 3-line block ×3, first 2 shown]
	global_wb scope:SCOPE_SE
	s_wait_dscnt 0x0
	s_barrier_signal -1
	s_barrier_wait -1
	global_inv scope:SCOPE_SE
	ds_load_2addr_b64 v[6:9], v1 offset0:92 offset1:202
	ds_load_2addr_b64 v[10:13], v3 offset0:20 offset1:130
	ds_load_2addr_b64 v[14:17], v5 offset0:112 offset1:222
	ds_load_2addr_b64 v[18:21], v2 offset0:40 offset1:150
	ds_load_2addr_b64 v[22:25], v4 offset0:56 offset1:166
	ds_load_2addr_b64 v[26:29], v153 offset1:110
	ds_load_2addr_b64 v[30:33], v0 offset0:76 offset1:186
	ds_load_b64 v[34:35], v153 offset:12320
	s_wait_dscnt 0x7
	v_mul_f32_e32 v36, v61, v9
	s_wait_dscnt 0x6
	v_dual_mul_f32 v37, v61, v8 :: v_dual_mul_f32 v38, v63, v11
	s_wait_dscnt 0x5
	v_dual_mul_f32 v39, v63, v10 :: v_dual_mul_f32 v40, v77, v17
	v_fmac_f32_e32 v36, v60, v8
	v_mul_f32_e32 v8, v77, v16
	v_fma_f32 v37, v60, v9, -v37
	v_fmac_f32_e32 v38, v62, v10
	v_fma_f32 v39, v62, v11, -v39
	s_wait_dscnt 0x4
	v_mul_f32_e32 v11, v79, v19
	v_mul_f32_e32 v9, v79, v18
	s_wait_dscnt 0x3
	v_mul_f32_e32 v10, v73, v22
	v_fma_f32 v42, v76, v17, -v8
	v_mul_f32_e32 v8, v75, v12
	v_dual_fmac_f32 v40, v76, v16 :: v_dual_mul_f32 v41, v73, v23
	v_fmac_f32_e32 v11, v78, v18
	v_fma_f32 v18, v78, v19, -v9
	v_fma_f32 v43, v72, v23, -v10
	v_mul_f32_e32 v23, v75, v13
	v_mul_f32_e32 v45, v67, v21
	v_fma_f32 v46, v74, v13, -v8
	v_mul_f32_e32 v8, v67, v20
	v_mul_f32_e32 v47, v71, v15
	s_wait_dscnt 0x1
	v_dual_mul_f32 v44, v65, v31 :: v_dual_fmac_f32 v45, v66, v20
	v_dual_fmac_f32 v23, v74, v12 :: v_dual_mul_f32 v10, v71, v14
	v_fma_f32 v48, v66, v21, -v8
	v_mul_f32_e32 v9, v65, v30
	v_fmac_f32_e32 v47, v70, v14
	v_add_f32_e32 v8, v38, v40
	v_sub_f32_e32 v12, v36, v38
	v_sub_f32_e32 v14, v11, v40
	v_add_f32_e32 v16, v36, v11
	v_fmac_f32_e32 v44, v64, v30
	v_fma_f32 v50, v70, v15, -v10
	v_add_f32_e32 v10, v26, v36
	v_fma_f32 v8, -0.5, v8, v26
	v_add_f32_e32 v19, v12, v14
	v_fma_f32 v12, -0.5, v16, v26
	v_sub_f32_e32 v26, v43, v48
	v_fma_f32 v30, v64, v31, -v9
	v_mul_f32_e32 v9, v69, v24
	v_mul_f32_e32 v31, v69, v25
	v_sub_f32_e32 v13, v37, v18
	v_fmac_f32_e32 v41, v72, v22
	v_mul_f32_e32 v51, v57, v33
	v_fma_f32 v49, v68, v25, -v9
	v_mul_f32_e32 v9, v57, v32
	v_fmac_f32_e32 v31, v68, v24
	v_sub_f32_e32 v15, v39, v42
	v_add_f32_e32 v20, v27, v37
	v_add_f32_e32 v24, v23, v44
	v_fma_f32 v33, v56, v33, -v9
	v_dual_add_f32 v9, v10, v38 :: v_dual_fmamk_f32 v10, v13, 0xbf737871, v8
	v_fmac_f32_e32 v8, 0x3f737871, v13
	s_wait_dscnt 0x0
	v_mul_f32_e32 v52, v59, v35
	v_mul_f32_e32 v17, v59, v34
	v_dual_add_f32 v9, v9, v40 :: v_dual_fmac_f32 v10, 0xbf167918, v15
	v_fmamk_f32 v16, v15, 0x3f737871, v12
	v_fmac_f32_e32 v8, 0x3f167918, v15
	v_fmac_f32_e32 v12, 0xbf737871, v15
	v_add_f32_e32 v15, v20, v39
	v_sub_f32_e32 v20, v37, v39
	v_sub_f32_e32 v22, v18, v42
	v_fmac_f32_e32 v52, v58, v34
	v_fma_f32 v53, v58, v35, -v17
	v_add_f32_e32 v21, v39, v42
	v_dual_add_f32 v34, v46, v30 :: v_dual_fmac_f32 v51, v56, v32
	v_add_f32_e32 v20, v20, v22
	v_sub_f32_e32 v22, v39, v37
	v_dual_add_f32 v14, v9, v11 :: v_dual_sub_f32 v9, v38, v36
	v_dual_add_f32 v32, v41, v45 :: v_dual_sub_f32 v17, v40, v11
	v_fmac_f32_e32 v16, 0xbf167918, v13
	v_dual_fmac_f32 v12, 0x3f167918, v13 :: v_dual_add_f32 v13, v37, v18
	s_delay_alu instid0(VALU_DEP_3)
	v_dual_fmac_f32 v10, 0x3e9e377a, v19 :: v_dual_add_f32 v17, v9, v17
	v_fma_f32 v9, -0.5, v21, v27
	v_sub_f32_e32 v21, v36, v11
	v_dual_fmac_f32 v8, 0x3e9e377a, v19 :: v_dual_add_f32 v15, v15, v42
	v_sub_f32_e32 v19, v38, v40
	v_fma_f32 v13, -0.5, v13, v27
	s_delay_alu instid0(VALU_DEP_4) | instskip(SKIP_3) | instid1(VALU_DEP_4)
	v_fmamk_f32 v11, v21, 0x3f737871, v9
	v_fmac_f32_e32 v9, 0xbf737871, v21
	v_add_f32_e32 v25, v28, v41
	v_add_f32_e32 v15, v15, v18
	v_dual_sub_f32 v18, v42, v18 :: v_dual_fmac_f32 v11, 0x3f167918, v19
	v_sub_f32_e32 v36, v48, v30
	v_fmac_f32_e32 v16, 0x3e9e377a, v17
	v_fmac_f32_e32 v12, 0x3e9e377a, v17
	v_sub_f32_e32 v37, v50, v33
	v_fmamk_f32 v17, v19, 0xbf737871, v13
	v_fmac_f32_e32 v9, 0xbf167918, v19
	v_fmac_f32_e32 v13, 0x3f737871, v19
	v_dual_add_f32 v19, v25, v23 :: v_dual_add_f32 v22, v22, v18
	s_delay_alu instid0(VALU_DEP_4)
	v_fmac_f32_e32 v17, 0x3f167918, v21
	v_fma_f32 v18, -0.5, v24, v28
	v_sub_f32_e32 v24, v41, v23
	v_sub_f32_e32 v27, v45, v44
	v_fmac_f32_e32 v13, 0xbf167918, v21
	v_add_f32_e32 v19, v19, v44
	v_fma_f32 v28, -0.5, v32, v28
	v_dual_add_f32 v32, v29, v43 :: v_dual_sub_f32 v25, v46, v30
	v_fmac_f32_e32 v9, 0x3e9e377a, v20
	v_add_f32_e32 v21, v24, v27
	v_sub_f32_e32 v27, v44, v45
	s_delay_alu instid0(VALU_DEP_4)
	v_dual_sub_f32 v35, v43, v46 :: v_dual_fmamk_f32 v24, v25, 0x3f737871, v28
	v_fmac_f32_e32 v17, 0x3e9e377a, v22
	v_dual_fmac_f32 v13, 0x3e9e377a, v22 :: v_dual_add_f32 v22, v19, v45
	v_sub_f32_e32 v19, v23, v41
	v_fmac_f32_e32 v28, 0xbf737871, v25
	v_add_f32_e32 v38, v31, v52
	v_fmac_f32_e32 v11, 0x3e9e377a, v20
	v_fmamk_f32 v20, v26, 0xbf737871, v18
	v_fmac_f32_e32 v18, 0x3f737871, v26
	v_dual_fmac_f32 v24, 0xbf167918, v26 :: v_dual_add_f32 v27, v19, v27
	v_sub_f32_e32 v40, v53, v33
	s_delay_alu instid0(VALU_DEP_4) | instskip(NEXT) | instid1(VALU_DEP_4)
	v_fmac_f32_e32 v20, 0xbf167918, v25
	v_dual_fmac_f32 v18, 0x3f167918, v25 :: v_dual_add_f32 v25, v32, v46
	v_fma_f32 v19, -0.5, v34, v29
	v_sub_f32_e32 v32, v41, v45
	v_fmac_f32_e32 v28, 0x3f167918, v26
	v_add_f32_e32 v26, v43, v48
	v_fmac_f32_e32 v20, 0x3e9e377a, v21
	v_fmac_f32_e32 v18, 0x3e9e377a, v21
	v_dual_fmac_f32 v24, 0x3e9e377a, v27 :: v_dual_add_f32 v25, v25, v30
	v_sub_f32_e32 v34, v23, v44
	v_dual_fmac_f32 v28, 0x3e9e377a, v27 :: v_dual_fmac_f32 v29, -0.5, v26
	v_dual_add_f32 v27, v35, v36 :: v_dual_sub_f32 v26, v46, v43
	v_dual_sub_f32 v30, v30, v48 :: v_dual_add_f32 v35, v47, v51
	v_sub_f32_e32 v41, v50, v49
	v_fmamk_f32 v21, v32, 0x3f737871, v19
	v_fmac_f32_e32 v19, 0xbf737871, v32
	v_add_f32_e32 v23, v25, v48
	v_fmamk_f32 v25, v34, 0xbf737871, v29
	v_add_f32_e32 v36, v26, v30
	v_fmac_f32_e32 v21, 0x3f167918, v34
	v_fmac_f32_e32 v19, 0xbf167918, v34
	v_dual_fmac_f32 v29, 0x3f737871, v34 :: v_dual_add_f32 v30, v6, v31
	v_fma_f32 v26, -0.5, v35, v6
	v_sub_f32_e32 v35, v49, v53
	v_fmac_f32_e32 v21, 0x3e9e377a, v27
	v_fmac_f32_e32 v25, 0x3f167918, v32
	;; [unrolled: 1-line block ×4, first 2 shown]
	v_dual_add_f32 v27, v30, v47 :: v_dual_fmamk_f32 v30, v35, 0xbf737871, v26
	v_sub_f32_e32 v32, v31, v47
	v_sub_f32_e32 v34, v52, v51
	v_fmac_f32_e32 v26, 0x3f737871, v35
	v_fma_f32 v6, -0.5, v38, v6
	v_dual_fmac_f32 v30, 0xbf167918, v37 :: v_dual_add_f32 v27, v27, v51
	s_delay_alu instid0(VALU_DEP_4) | instskip(NEXT) | instid1(VALU_DEP_4)
	v_add_f32_e32 v34, v32, v34
	v_fmac_f32_e32 v26, 0x3f167918, v37
	v_fmac_f32_e32 v25, 0x3e9e377a, v36
	;; [unrolled: 1-line block ×3, first 2 shown]
	v_add_f32_e32 v32, v27, v52
	v_fmac_f32_e32 v30, 0x3e9e377a, v34
	v_fmac_f32_e32 v26, 0x3e9e377a, v34
	v_fmamk_f32 v34, v37, 0x3f737871, v6
	v_fmac_f32_e32 v6, 0xbf737871, v37
	v_add_f32_e32 v37, v7, v49
	v_dual_add_f32 v27, v50, v33 :: v_dual_sub_f32 v36, v47, v31
	v_sub_f32_e32 v38, v51, v52
	v_fmac_f32_e32 v34, 0xbf167918, v35
	s_delay_alu instid0(VALU_DEP_4) | instskip(SKIP_3) | instid1(VALU_DEP_3)
	v_dual_fmac_f32 v6, 0x3f167918, v35 :: v_dual_add_f32 v35, v37, v50
	v_add_f32_e32 v37, v49, v53
	v_fma_f32 v27, -0.5, v27, v7
	v_dual_sub_f32 v39, v31, v52 :: v_dual_add_f32 v36, v36, v38
	v_dual_sub_f32 v38, v47, v51 :: v_dual_fmac_f32 v7, -0.5, v37
	v_sub_f32_e32 v37, v49, v50
	s_delay_alu instid0(VALU_DEP_3) | instskip(NEXT) | instid1(VALU_DEP_4)
	v_fmamk_f32 v31, v39, 0x3f737871, v27
	v_fmac_f32_e32 v34, 0x3e9e377a, v36
	v_fmac_f32_e32 v6, 0x3e9e377a, v36
	v_dual_add_f32 v36, v35, v33 :: v_dual_fmac_f32 v27, 0xbf737871, v39
	v_fmamk_f32 v35, v38, 0xbf737871, v7
	v_sub_f32_e32 v33, v33, v53
	v_fmac_f32_e32 v7, 0x3f737871, v38
	v_fmac_f32_e32 v31, 0x3f167918, v38
	v_add_f32_e32 v37, v37, v40
	s_delay_alu instid0(VALU_DEP_4) | instskip(NEXT) | instid1(VALU_DEP_4)
	v_dual_fmac_f32 v27, 0xbf167918, v38 :: v_dual_add_f32 v38, v41, v33
	v_fmac_f32_e32 v7, 0xbf167918, v39
	v_fmac_f32_e32 v35, 0x3f167918, v39
	v_add_f32_e32 v33, v36, v53
	v_fmac_f32_e32 v31, 0x3e9e377a, v37
	v_fmac_f32_e32 v27, 0x3e9e377a, v37
	;; [unrolled: 1-line block ×4, first 2 shown]
	ds_store_2addr_b64 v153, v[14:15], v[22:23] offset1:110
	ds_store_2addr_b64 v3, v[16:17], v[24:25] offset0:20 offset1:130
	ds_store_2addr_b64 v2, v[8:9], v[18:19] offset0:40 offset1:150
	;; [unrolled: 1-line block ×6, first 2 shown]
	ds_store_b64 v153, v[26:27] offset:12320
	global_wb scope:SCOPE_SE
	s_wait_dscnt 0x0
	s_barrier_signal -1
	s_barrier_wait -1
	global_inv scope:SCOPE_SE
	ds_load_2addr_b64 v[5:8], v153 offset1:150
	v_add_nc_u32_e32 v9, 0x800, v153
	v_add_nc_u32_e32 v13, 0x1000, v153
	;; [unrolled: 1-line block ×3, first 2 shown]
	v_mad_co_u64_u32 v[21:22], null, s6, v110, 0
	ds_load_2addr_b64 v[9:12], v9 offset0:44 offset1:194
	ds_load_2addr_b64 v[13:16], v13 offset0:88 offset1:238
	v_mad_co_u64_u32 v[25:26], null, s4, v154, 0
	s_wait_dscnt 0x2
	v_mul_f32_e32 v0, v132, v6
	v_mul_f32_e32 v1, v132, v5
	s_delay_alu instid0(VALU_DEP_2) | instskip(NEXT) | instid1(VALU_DEP_2)
	v_dual_mul_f32 v17, v130, v8 :: v_dual_fmac_f32 v0, v131, v5
	v_fma_f32 v5, v131, v6, -v1
	s_delay_alu instid0(VALU_DEP_2)
	v_fmac_f32_e32 v17, v129, v7
	s_wait_dscnt 0x0
	v_mul_f32_e32 v35, v120, v14
	v_mul_f32_e32 v36, v120, v13
	v_cvt_f64_f32_e32 v[0:1], v0
	v_cvt_f64_f32_e32 v[5:6], v5
	;; [unrolled: 1-line block ×3, first 2 shown]
	v_mul_f32_e32 v17, v114, v12
	v_mul_f32_e32 v37, v122, v16
	v_dual_mul_f32 v38, v122, v15 :: v_dual_fmac_f32 v35, v119, v13
	v_fma_f32 v36, v119, v14, -v36
	s_delay_alu instid0(VALU_DEP_4) | instskip(NEXT) | instid1(VALU_DEP_4)
	v_fmac_f32_e32 v17, v113, v11
	v_fmac_f32_e32 v37, v121, v15
	v_mul_f32_e32 v11, v114, v11
	v_fma_f32 v39, v121, v16, -v38
	v_cvt_f64_f32_e32 v[13:14], v35
	v_cvt_f64_f32_e32 v[33:34], v17
	;; [unrolled: 1-line block ×4, first 2 shown]
	ds_load_b64 v[37:38], v153 offset:12000
	v_fma_f32 v11, v113, v12, -v11
	v_cvt_f64_f32_e32 v[39:40], v39
	s_delay_alu instid0(VALU_DEP_2)
	v_cvt_f64_f32_e32 v[11:12], v11
	s_wait_dscnt 0x0
	v_mul_f32_e32 v49, v128, v38
	v_mul_f32_e32 v50, v128, v37
	s_wait_alu 0xfffe
	v_mul_f64_e32 v[0:1], s[2:3], v[0:1]
	v_mul_f64_e32 v[23:24], s[2:3], v[5:6]
	v_mul_f32_e32 v5, v130, v7
	v_mul_f32_e32 v7, v124, v9
	v_dual_mul_f32 v6, v124, v10 :: v_dual_fmac_f32 v49, v127, v37
	v_fma_f32 v50, v127, v38, -v50
	s_delay_alu instid0(VALU_DEP_4) | instskip(NEXT) | instid1(VALU_DEP_4)
	v_fma_f32 v5, v129, v8, -v5
	v_fma_f32 v18, v123, v10, -v7
	s_delay_alu instid0(VALU_DEP_4) | instskip(SKIP_1) | instid1(VALU_DEP_4)
	v_fmac_f32_e32 v6, v123, v9
	v_mul_f64_e32 v[27:28], s[2:3], v[27:28]
	v_cvt_f64_f32_e32 v[29:30], v5
	v_add_nc_u32_e32 v5, 0x1c00, v153
	v_cvt_f64_f32_e32 v[31:32], v18
	ds_load_2addr_b64 v[17:20], v19 offset0:48 offset1:198
	v_cvt_f64_f32_e32 v[9:10], v6
	v_mul_f64_e32 v[13:14], s[2:3], v[13:14]
	ds_load_2addr_b64 v[5:8], v5 offset0:4 offset1:154
	v_mul_f64_e32 v[15:16], s[2:3], v[15:16]
	v_mul_f64_e32 v[11:12], s[2:3], v[11:12]
	s_wait_dscnt 0x1
	v_mul_f32_e32 v48, v126, v19
	v_mul_f32_e32 v45, v118, v18
	;; [unrolled: 1-line block ×3, first 2 shown]
	s_wait_dscnt 0x0
	v_mul_f32_e32 v41, v112, v6
	v_mul_f32_e32 v42, v112, v5
	;; [unrolled: 1-line block ×3, first 2 shown]
	v_dual_mul_f32 v44, v116, v7 :: v_dual_fmac_f32 v45, v117, v17
	v_mul_f32_e32 v17, v118, v17
	v_fmac_f32_e32 v41, v111, v5
	v_fma_f32 v42, v111, v6, -v42
	v_fmac_f32_e32 v43, v115, v7
	v_fma_f32 v44, v115, v8, -v44
	v_fma_f32 v17, v117, v18, -v17
	v_fmac_f32_e32 v47, v125, v19
	v_fma_f32 v48, v125, v20, -v48
	v_cvt_f64_f32_e32 v[5:6], v41
	v_cvt_f64_f32_e32 v[7:8], v42
	;; [unrolled: 1-line block ×10, first 2 shown]
	v_mad_co_u64_u32 v[51:52], null, s7, v110, v[22:23]
	v_mov_b32_e32 v22, v26
	v_mul_f64_e32 v[29:30], s[2:3], v[29:30]
	v_cvt_f32_f64_e32 v0, v[0:1]
	v_cvt_f32_f64_e32 v1, v[23:24]
	v_mul_f64_e32 v[9:10], s[2:3], v[9:10]
	v_mad_co_u64_u32 v[52:53], null, s5, v154, v[22:23]
	v_mul_f64_e32 v[23:24], s[2:3], v[31:32]
	v_mov_b32_e32 v22, v51
	v_mul_f64_e32 v[31:32], s[2:3], v[33:34]
	v_mul_f64_e32 v[33:34], s[2:3], v[39:40]
	v_cvt_f32_f64_e32 v27, v[27:28]
	s_delay_alu instid0(VALU_DEP_4) | instskip(SKIP_1) | instid1(VALU_DEP_2)
	v_lshlrev_b64_e32 v[21:22], 3, v[21:22]
	v_mov_b32_e32 v26, v52
	v_add_co_u32 v51, s0, s10, v21
	s_wait_alu 0xf1ff
	s_delay_alu instid0(VALU_DEP_3) | instskip(NEXT) | instid1(VALU_DEP_3)
	v_add_co_ci_u32_e64 v52, s0, s11, v22, s0
	v_lshlrev_b64_e32 v[21:22], 3, v[25:26]
	v_mul_f64_e32 v[25:26], s[2:3], v[35:36]
	v_mul_f64_e32 v[5:6], s[2:3], v[5:6]
	;; [unrolled: 1-line block ×11, first 2 shown]
	v_add_co_u32 v21, s0, v51, v21
	s_wait_alu 0xf1ff
	v_add_co_ci_u32_e64 v22, s0, v52, v22, s0
	v_cvt_f32_f64_e32 v28, v[29:30]
	s_mul_u64 s[0:1], s[4:5], 0x96
	v_cvt_f32_f64_e32 v9, v[9:10]
	s_wait_alu 0xfffe
	s_lshl_b64 s[6:7], s[0:1], 3
	global_store_b64 v[21:22], v[0:1], off
	v_cvt_f32_f64_e32 v10, v[23:24]
	s_wait_alu 0xfffe
	v_add_co_u32 v29, s0, v21, s6
	v_cvt_f32_f64_e32 v31, v[31:32]
	v_cvt_f32_f64_e32 v32, v[11:12]
	s_wait_alu 0xf1ff
	v_add_co_ci_u32_e64 v30, s0, s7, v22, s0
	v_cvt_f32_f64_e32 v11, v[13:14]
	v_cvt_f32_f64_e32 v12, v[15:16]
	v_add_co_u32 v23, s0, v29, s6
	s_wait_alu 0xf1ff
	v_add_co_ci_u32_e64 v24, s0, s7, v30, s0
	v_cvt_f32_f64_e32 v16, v[33:34]
	s_delay_alu instid0(VALU_DEP_3) | instskip(SKIP_1) | instid1(VALU_DEP_3)
	v_add_co_u32 v13, s0, v23, s6
	s_wait_alu 0xf1ff
	v_add_co_ci_u32_e64 v14, s0, s7, v24, s0
	v_cvt_f32_f64_e32 v15, v[25:26]
	v_cvt_f32_f64_e32 v5, v[5:6]
	;; [unrolled: 1-line block ×5, first 2 shown]
	v_add_co_u32 v33, s0, v13, s6
	v_cvt_f32_f64_e32 v25, v[41:42]
	v_cvt_f32_f64_e32 v26, v[17:18]
	;; [unrolled: 1-line block ×4, first 2 shown]
	s_wait_alu 0xf1ff
	v_add_co_ci_u32_e64 v34, s0, s7, v14, s0
	v_cvt_f32_f64_e32 v19, v[43:44]
	v_cvt_f32_f64_e32 v20, v[45:46]
	v_add_co_u32 v0, s0, v33, s6
	s_wait_alu 0xf1ff
	v_add_co_ci_u32_e64 v1, s0, s7, v34, s0
	global_store_b64 v[29:30], v[27:28], off
	v_add_co_u32 v21, s0, v0, s6
	s_wait_alu 0xf1ff
	v_add_co_ci_u32_e64 v22, s0, s7, v1, s0
	global_store_b64 v[23:24], v[9:10], off
	;; [unrolled: 4-line block ×6, first 2 shown]
	global_store_b64 v[9:10], v[7:8], off
	global_store_b64 v[13:14], v[25:26], off
	;; [unrolled: 1-line block ×4, first 2 shown]
	s_and_b32 exec_lo, exec_lo, vcc_lo
	s_cbranch_execz .LBB0_23
; %bb.22:
	global_load_b64 v[9:10], v[108:109], off offset:880
	v_add_nc_u32_e32 v5, 0x200, v153
	v_mad_co_u64_u32 v[0:1], null, 0xffffd490, s4, v[0:1]
	s_mul_i32 s0, s5, 0xffffd490
	ds_load_2addr_b64 v[5:8], v5 offset0:46 offset1:196
	s_wait_alu 0xfffe
	s_sub_co_i32 s0, s0, s4
	s_wait_alu 0xfffe
	v_add_nc_u32_e32 v1, s0, v1
	s_wait_loadcnt_dscnt 0x0
	v_mul_f32_e32 v11, v6, v10
	v_mul_f32_e32 v10, v5, v10
	s_delay_alu instid0(VALU_DEP_2) | instskip(NEXT) | instid1(VALU_DEP_2)
	v_fmac_f32_e32 v11, v5, v9
	v_fma_f32 v9, v9, v6, -v10
	s_delay_alu instid0(VALU_DEP_2) | instskip(NEXT) | instid1(VALU_DEP_2)
	v_cvt_f64_f32_e32 v[5:6], v11
	v_cvt_f64_f32_e32 v[9:10], v9
	s_delay_alu instid0(VALU_DEP_2) | instskip(NEXT) | instid1(VALU_DEP_2)
	v_mul_f64_e32 v[5:6], s[2:3], v[5:6]
	v_mul_f64_e32 v[9:10], s[2:3], v[9:10]
	s_delay_alu instid0(VALU_DEP_2) | instskip(NEXT) | instid1(VALU_DEP_2)
	v_cvt_f32_f64_e32 v5, v[5:6]
	v_cvt_f32_f64_e32 v6, v[9:10]
	global_store_b64 v[0:1], v[5:6], off
	global_load_b64 v[5:6], v[108:109], off offset:2080
	v_add_co_u32 v0, vcc_lo, v0, s6
	s_wait_alu 0xfffd
	v_add_co_ci_u32_e32 v1, vcc_lo, s7, v1, vcc_lo
	s_wait_loadcnt 0x0
	v_mul_f32_e32 v9, v8, v6
	v_mul_f32_e32 v6, v7, v6
	s_delay_alu instid0(VALU_DEP_2) | instskip(NEXT) | instid1(VALU_DEP_2)
	v_fmac_f32_e32 v9, v7, v5
	v_fma_f32 v7, v5, v8, -v6
	s_delay_alu instid0(VALU_DEP_2) | instskip(NEXT) | instid1(VALU_DEP_2)
	v_cvt_f64_f32_e32 v[5:6], v9
	v_cvt_f64_f32_e32 v[7:8], v7
	s_delay_alu instid0(VALU_DEP_2) | instskip(NEXT) | instid1(VALU_DEP_2)
	v_mul_f64_e32 v[5:6], s[2:3], v[5:6]
	v_mul_f64_e32 v[7:8], s[2:3], v[7:8]
	s_delay_alu instid0(VALU_DEP_2) | instskip(NEXT) | instid1(VALU_DEP_2)
	v_cvt_f32_f64_e32 v5, v[5:6]
	v_cvt_f32_f64_e32 v6, v[7:8]
	global_store_b64 v[0:1], v[5:6], off
	global_load_b64 v[8:9], v[108:109], off offset:3280
	ds_load_2addr_b64 v[4:7], v4 offset0:26 offset1:176
	v_add_co_u32 v0, vcc_lo, v0, s6
	s_wait_alu 0xfffd
	v_add_co_ci_u32_e32 v1, vcc_lo, s7, v1, vcc_lo
	s_wait_loadcnt_dscnt 0x0
	v_mul_f32_e32 v10, v5, v9
	v_mul_f32_e32 v9, v4, v9
	s_delay_alu instid0(VALU_DEP_2) | instskip(NEXT) | instid1(VALU_DEP_2)
	v_fmac_f32_e32 v10, v4, v8
	v_fma_f32 v8, v8, v5, -v9
	s_delay_alu instid0(VALU_DEP_2) | instskip(NEXT) | instid1(VALU_DEP_2)
	v_cvt_f64_f32_e32 v[4:5], v10
	v_cvt_f64_f32_e32 v[8:9], v8
	s_delay_alu instid0(VALU_DEP_2) | instskip(NEXT) | instid1(VALU_DEP_2)
	v_mul_f64_e32 v[4:5], s[2:3], v[4:5]
	v_mul_f64_e32 v[8:9], s[2:3], v[8:9]
	s_delay_alu instid0(VALU_DEP_2) | instskip(NEXT) | instid1(VALU_DEP_2)
	v_cvt_f32_f64_e32 v4, v[4:5]
	v_cvt_f32_f64_e32 v5, v[8:9]
	global_store_b64 v[0:1], v[4:5], off
	global_load_b64 v[4:5], v[108:109], off offset:4480
	v_add_co_u32 v0, vcc_lo, v0, s6
	s_wait_alu 0xfffd
	v_add_co_ci_u32_e32 v1, vcc_lo, s7, v1, vcc_lo
	s_wait_loadcnt 0x0
	v_mul_f32_e32 v8, v7, v5
	v_mul_f32_e32 v5, v6, v5
	s_delay_alu instid0(VALU_DEP_2) | instskip(NEXT) | instid1(VALU_DEP_2)
	v_fmac_f32_e32 v8, v6, v4
	v_fma_f32 v6, v4, v7, -v5
	s_delay_alu instid0(VALU_DEP_2) | instskip(NEXT) | instid1(VALU_DEP_2)
	v_cvt_f64_f32_e32 v[4:5], v8
	v_cvt_f64_f32_e32 v[6:7], v6
	s_delay_alu instid0(VALU_DEP_2) | instskip(NEXT) | instid1(VALU_DEP_2)
	v_mul_f64_e32 v[4:5], s[2:3], v[4:5]
	v_mul_f64_e32 v[6:7], s[2:3], v[6:7]
	s_delay_alu instid0(VALU_DEP_2) | instskip(NEXT) | instid1(VALU_DEP_2)
	v_cvt_f32_f64_e32 v4, v[4:5]
	v_cvt_f32_f64_e32 v5, v[6:7]
	global_store_b64 v[0:1], v[4:5], off
	global_load_b64 v[7:8], v[108:109], off offset:5680
	ds_load_2addr_b64 v[3:6], v3 offset0:70 offset1:220
	v_add_co_u32 v0, vcc_lo, v0, s6
	s_wait_alu 0xfffd
	v_add_co_ci_u32_e32 v1, vcc_lo, s7, v1, vcc_lo
	s_wait_loadcnt_dscnt 0x0
	v_mul_f32_e32 v9, v4, v8
	v_mul_f32_e32 v8, v3, v8
	s_delay_alu instid0(VALU_DEP_2) | instskip(NEXT) | instid1(VALU_DEP_2)
	v_fmac_f32_e32 v9, v3, v7
	v_fma_f32 v7, v7, v4, -v8
	s_delay_alu instid0(VALU_DEP_2) | instskip(NEXT) | instid1(VALU_DEP_2)
	v_cvt_f64_f32_e32 v[3:4], v9
	v_cvt_f64_f32_e32 v[7:8], v7
	s_delay_alu instid0(VALU_DEP_2) | instskip(NEXT) | instid1(VALU_DEP_2)
	v_mul_f64_e32 v[3:4], s[2:3], v[3:4]
	v_mul_f64_e32 v[7:8], s[2:3], v[7:8]
	s_delay_alu instid0(VALU_DEP_2) | instskip(NEXT) | instid1(VALU_DEP_2)
	v_cvt_f32_f64_e32 v3, v[3:4]
	v_cvt_f32_f64_e32 v4, v[7:8]
	global_store_b64 v[0:1], v[3:4], off
	global_load_b64 v[3:4], v[108:109], off offset:6880
	v_add_co_u32 v0, vcc_lo, v0, s6
	s_wait_alu 0xfffd
	v_add_co_ci_u32_e32 v1, vcc_lo, s7, v1, vcc_lo
	s_wait_loadcnt 0x0
	v_mul_f32_e32 v7, v6, v4
	v_mul_f32_e32 v4, v5, v4
	s_delay_alu instid0(VALU_DEP_2) | instskip(NEXT) | instid1(VALU_DEP_2)
	v_fmac_f32_e32 v7, v5, v3
	v_fma_f32 v5, v3, v6, -v4
	s_delay_alu instid0(VALU_DEP_2) | instskip(NEXT) | instid1(VALU_DEP_2)
	v_cvt_f64_f32_e32 v[3:4], v7
	v_cvt_f64_f32_e32 v[5:6], v5
	s_delay_alu instid0(VALU_DEP_2) | instskip(NEXT) | instid1(VALU_DEP_2)
	v_mul_f64_e32 v[3:4], s[2:3], v[3:4]
	v_mul_f64_e32 v[5:6], s[2:3], v[5:6]
	s_delay_alu instid0(VALU_DEP_2) | instskip(NEXT) | instid1(VALU_DEP_2)
	v_cvt_f32_f64_e32 v3, v[3:4]
	v_cvt_f32_f64_e32 v4, v[5:6]
	global_store_b64 v[0:1], v[3:4], off
	global_load_b64 v[7:8], v[108:109], off offset:8080
	v_add_nc_u32_e32 v3, 0x1e00, v153
	v_add_co_u32 v0, vcc_lo, v0, s6
	s_wait_alu 0xfffd
	v_add_co_ci_u32_e32 v1, vcc_lo, s7, v1, vcc_lo
	ds_load_2addr_b64 v[3:6], v3 offset0:50 offset1:200
	s_wait_loadcnt_dscnt 0x0
	v_mul_f32_e32 v9, v4, v8
	v_mul_f32_e32 v8, v3, v8
	s_delay_alu instid0(VALU_DEP_2) | instskip(NEXT) | instid1(VALU_DEP_2)
	v_fmac_f32_e32 v9, v3, v7
	v_fma_f32 v7, v7, v4, -v8
	s_delay_alu instid0(VALU_DEP_2) | instskip(NEXT) | instid1(VALU_DEP_2)
	v_cvt_f64_f32_e32 v[3:4], v9
	v_cvt_f64_f32_e32 v[7:8], v7
	s_delay_alu instid0(VALU_DEP_2) | instskip(NEXT) | instid1(VALU_DEP_2)
	v_mul_f64_e32 v[3:4], s[2:3], v[3:4]
	v_mul_f64_e32 v[7:8], s[2:3], v[7:8]
	s_delay_alu instid0(VALU_DEP_2) | instskip(NEXT) | instid1(VALU_DEP_2)
	v_cvt_f32_f64_e32 v3, v[3:4]
	v_cvt_f32_f64_e32 v4, v[7:8]
	global_store_b64 v[0:1], v[3:4], off
	global_load_b64 v[3:4], v[108:109], off offset:9280
	s_wait_loadcnt 0x0
	v_mul_f32_e32 v7, v6, v4
	v_mul_f32_e32 v4, v5, v4
	s_delay_alu instid0(VALU_DEP_2) | instskip(NEXT) | instid1(VALU_DEP_2)
	v_fmac_f32_e32 v7, v5, v3
	v_fma_f32 v5, v3, v6, -v4
	s_delay_alu instid0(VALU_DEP_2) | instskip(NEXT) | instid1(VALU_DEP_2)
	v_cvt_f64_f32_e32 v[3:4], v7
	v_cvt_f64_f32_e32 v[5:6], v5
	s_delay_alu instid0(VALU_DEP_2) | instskip(NEXT) | instid1(VALU_DEP_2)
	v_mul_f64_e32 v[3:4], s[2:3], v[3:4]
	v_mul_f64_e32 v[5:6], s[2:3], v[5:6]
	s_delay_alu instid0(VALU_DEP_2) | instskip(NEXT) | instid1(VALU_DEP_2)
	v_cvt_f32_f64_e32 v3, v[3:4]
	v_cvt_f32_f64_e32 v4, v[5:6]
	v_add_co_u32 v5, vcc_lo, v0, s6
	s_wait_alu 0xfffd
	v_add_co_ci_u32_e32 v6, vcc_lo, s7, v1, vcc_lo
	global_store_b64 v[5:6], v[3:4], off
	global_load_b64 v[7:8], v[108:109], off offset:10480
	ds_load_2addr_b64 v[0:3], v2 offset0:30 offset1:180
	s_wait_loadcnt_dscnt 0x0
	v_mul_f32_e32 v4, v1, v8
	v_mul_f32_e32 v8, v0, v8
	s_delay_alu instid0(VALU_DEP_2) | instskip(NEXT) | instid1(VALU_DEP_2)
	v_fmac_f32_e32 v4, v0, v7
	v_fma_f32 v7, v7, v1, -v8
	s_delay_alu instid0(VALU_DEP_2) | instskip(NEXT) | instid1(VALU_DEP_2)
	v_cvt_f64_f32_e32 v[0:1], v4
	v_cvt_f64_f32_e32 v[7:8], v7
	v_add_co_u32 v4, vcc_lo, v5, s6
	s_wait_alu 0xfffd
	v_add_co_ci_u32_e32 v5, vcc_lo, s7, v6, vcc_lo
	s_delay_alu instid0(VALU_DEP_4) | instskip(NEXT) | instid1(VALU_DEP_4)
	v_mul_f64_e32 v[0:1], s[2:3], v[0:1]
	v_mul_f64_e32 v[7:8], s[2:3], v[7:8]
	s_delay_alu instid0(VALU_DEP_2) | instskip(NEXT) | instid1(VALU_DEP_2)
	v_cvt_f32_f64_e32 v0, v[0:1]
	v_cvt_f32_f64_e32 v1, v[7:8]
	global_store_b64 v[4:5], v[0:1], off
	global_load_b64 v[0:1], v[108:109], off offset:11680
	s_wait_loadcnt 0x0
	v_mul_f32_e32 v6, v3, v1
	v_mul_f32_e32 v1, v2, v1
	s_delay_alu instid0(VALU_DEP_2) | instskip(NEXT) | instid1(VALU_DEP_2)
	v_fmac_f32_e32 v6, v2, v0
	v_fma_f32 v2, v0, v3, -v1
	s_delay_alu instid0(VALU_DEP_2) | instskip(NEXT) | instid1(VALU_DEP_2)
	v_cvt_f64_f32_e32 v[0:1], v6
	v_cvt_f64_f32_e32 v[2:3], v2
	s_delay_alu instid0(VALU_DEP_2) | instskip(NEXT) | instid1(VALU_DEP_2)
	v_mul_f64_e32 v[0:1], s[2:3], v[0:1]
	v_mul_f64_e32 v[2:3], s[2:3], v[2:3]
	s_delay_alu instid0(VALU_DEP_2) | instskip(NEXT) | instid1(VALU_DEP_2)
	v_cvt_f32_f64_e32 v0, v[0:1]
	v_cvt_f32_f64_e32 v1, v[2:3]
	v_add_co_u32 v2, vcc_lo, v4, s6
	s_wait_alu 0xfffd
	v_add_co_ci_u32_e32 v3, vcc_lo, s7, v5, vcc_lo
	ds_load_b64 v[4:5], v153 offset:12880
	global_store_b64 v[2:3], v[0:1], off
	global_load_b64 v[0:1], v[108:109], off offset:12880
	v_add_co_u32 v2, vcc_lo, v2, s6
	s_wait_alu 0xfffd
	v_add_co_ci_u32_e32 v3, vcc_lo, s7, v3, vcc_lo
	s_wait_loadcnt_dscnt 0x0
	v_mul_f32_e32 v6, v5, v1
	v_mul_f32_e32 v1, v4, v1
	s_delay_alu instid0(VALU_DEP_2) | instskip(NEXT) | instid1(VALU_DEP_2)
	v_fmac_f32_e32 v6, v4, v0
	v_fma_f32 v4, v0, v5, -v1
	s_delay_alu instid0(VALU_DEP_2) | instskip(NEXT) | instid1(VALU_DEP_2)
	v_cvt_f64_f32_e32 v[0:1], v6
	v_cvt_f64_f32_e32 v[4:5], v4
	s_delay_alu instid0(VALU_DEP_2) | instskip(NEXT) | instid1(VALU_DEP_2)
	v_mul_f64_e32 v[0:1], s[2:3], v[0:1]
	v_mul_f64_e32 v[4:5], s[2:3], v[4:5]
	s_delay_alu instid0(VALU_DEP_2) | instskip(NEXT) | instid1(VALU_DEP_2)
	v_cvt_f32_f64_e32 v0, v[0:1]
	v_cvt_f32_f64_e32 v1, v[4:5]
	global_store_b64 v[2:3], v[0:1], off
.LBB0_23:
	s_nop 0
	s_sendmsg sendmsg(MSG_DEALLOC_VGPRS)
	s_endpgm
	.section	.rodata,"a",@progbits
	.p2align	6, 0x0
	.amdhsa_kernel bluestein_single_fwd_len1650_dim1_sp_op_CI_CI
		.amdhsa_group_segment_fixed_size 13200
		.amdhsa_private_segment_fixed_size 0
		.amdhsa_kernarg_size 104
		.amdhsa_user_sgpr_count 2
		.amdhsa_user_sgpr_dispatch_ptr 0
		.amdhsa_user_sgpr_queue_ptr 0
		.amdhsa_user_sgpr_kernarg_segment_ptr 1
		.amdhsa_user_sgpr_dispatch_id 0
		.amdhsa_user_sgpr_private_segment_size 0
		.amdhsa_wavefront_size32 1
		.amdhsa_uses_dynamic_stack 0
		.amdhsa_enable_private_segment 0
		.amdhsa_system_sgpr_workgroup_id_x 1
		.amdhsa_system_sgpr_workgroup_id_y 0
		.amdhsa_system_sgpr_workgroup_id_z 0
		.amdhsa_system_sgpr_workgroup_info 0
		.amdhsa_system_vgpr_workitem_id 0
		.amdhsa_next_free_vgpr 244
		.amdhsa_next_free_sgpr 16
		.amdhsa_reserve_vcc 1
		.amdhsa_float_round_mode_32 0
		.amdhsa_float_round_mode_16_64 0
		.amdhsa_float_denorm_mode_32 3
		.amdhsa_float_denorm_mode_16_64 3
		.amdhsa_fp16_overflow 0
		.amdhsa_workgroup_processor_mode 1
		.amdhsa_memory_ordered 1
		.amdhsa_forward_progress 0
		.amdhsa_round_robin_scheduling 0
		.amdhsa_exception_fp_ieee_invalid_op 0
		.amdhsa_exception_fp_denorm_src 0
		.amdhsa_exception_fp_ieee_div_zero 0
		.amdhsa_exception_fp_ieee_overflow 0
		.amdhsa_exception_fp_ieee_underflow 0
		.amdhsa_exception_fp_ieee_inexact 0
		.amdhsa_exception_int_div_zero 0
	.end_amdhsa_kernel
	.text
.Lfunc_end0:
	.size	bluestein_single_fwd_len1650_dim1_sp_op_CI_CI, .Lfunc_end0-bluestein_single_fwd_len1650_dim1_sp_op_CI_CI
                                        ; -- End function
	.section	.AMDGPU.csdata,"",@progbits
; Kernel info:
; codeLenInByte = 25396
; NumSgprs: 18
; NumVgprs: 244
; ScratchSize: 0
; MemoryBound: 0
; FloatMode: 240
; IeeeMode: 1
; LDSByteSize: 13200 bytes/workgroup (compile time only)
; SGPRBlocks: 2
; VGPRBlocks: 30
; NumSGPRsForWavesPerEU: 18
; NumVGPRsForWavesPerEU: 244
; Occupancy: 5
; WaveLimiterHint : 1
; COMPUTE_PGM_RSRC2:SCRATCH_EN: 0
; COMPUTE_PGM_RSRC2:USER_SGPR: 2
; COMPUTE_PGM_RSRC2:TRAP_HANDLER: 0
; COMPUTE_PGM_RSRC2:TGID_X_EN: 1
; COMPUTE_PGM_RSRC2:TGID_Y_EN: 0
; COMPUTE_PGM_RSRC2:TGID_Z_EN: 0
; COMPUTE_PGM_RSRC2:TIDIG_COMP_CNT: 0
	.text
	.p2alignl 7, 3214868480
	.fill 96, 4, 3214868480
	.type	__hip_cuid_42fbeaa03172b2e3,@object ; @__hip_cuid_42fbeaa03172b2e3
	.section	.bss,"aw",@nobits
	.globl	__hip_cuid_42fbeaa03172b2e3
__hip_cuid_42fbeaa03172b2e3:
	.byte	0                               ; 0x0
	.size	__hip_cuid_42fbeaa03172b2e3, 1

	.ident	"AMD clang version 19.0.0git (https://github.com/RadeonOpenCompute/llvm-project roc-6.4.0 25133 c7fe45cf4b819c5991fe208aaa96edf142730f1d)"
	.section	".note.GNU-stack","",@progbits
	.addrsig
	.addrsig_sym __hip_cuid_42fbeaa03172b2e3
	.amdgpu_metadata
---
amdhsa.kernels:
  - .args:
      - .actual_access:  read_only
        .address_space:  global
        .offset:         0
        .size:           8
        .value_kind:     global_buffer
      - .actual_access:  read_only
        .address_space:  global
        .offset:         8
        .size:           8
        .value_kind:     global_buffer
      - .actual_access:  read_only
        .address_space:  global
        .offset:         16
        .size:           8
        .value_kind:     global_buffer
      - .actual_access:  read_only
        .address_space:  global
        .offset:         24
        .size:           8
        .value_kind:     global_buffer
      - .actual_access:  read_only
        .address_space:  global
        .offset:         32
        .size:           8
        .value_kind:     global_buffer
      - .offset:         40
        .size:           8
        .value_kind:     by_value
      - .address_space:  global
        .offset:         48
        .size:           8
        .value_kind:     global_buffer
      - .address_space:  global
        .offset:         56
        .size:           8
        .value_kind:     global_buffer
      - .address_space:  global
        .offset:         64
        .size:           8
        .value_kind:     global_buffer
      - .address_space:  global
        .offset:         72
        .size:           8
        .value_kind:     global_buffer
      - .offset:         80
        .size:           4
        .value_kind:     by_value
      - .address_space:  global
        .offset:         88
        .size:           8
        .value_kind:     global_buffer
      - .address_space:  global
        .offset:         96
        .size:           8
        .value_kind:     global_buffer
    .group_segment_fixed_size: 13200
    .kernarg_segment_align: 8
    .kernarg_segment_size: 104
    .language:       OpenCL C
    .language_version:
      - 2
      - 0
    .max_flat_workgroup_size: 110
    .name:           bluestein_single_fwd_len1650_dim1_sp_op_CI_CI
    .private_segment_fixed_size: 0
    .sgpr_count:     18
    .sgpr_spill_count: 0
    .symbol:         bluestein_single_fwd_len1650_dim1_sp_op_CI_CI.kd
    .uniform_work_group_size: 1
    .uses_dynamic_stack: false
    .vgpr_count:     244
    .vgpr_spill_count: 0
    .wavefront_size: 32
    .workgroup_processor_mode: 1
amdhsa.target:   amdgcn-amd-amdhsa--gfx1201
amdhsa.version:
  - 1
  - 2
...

	.end_amdgpu_metadata
